;; amdgpu-corpus repo=ROCm/rocFFT kind=compiled arch=gfx1030 opt=O3
	.text
	.amdgcn_target "amdgcn-amd-amdhsa--gfx1030"
	.amdhsa_code_object_version 6
	.protected	bluestein_single_fwd_len1500_dim1_half_op_CI_CI ; -- Begin function bluestein_single_fwd_len1500_dim1_half_op_CI_CI
	.globl	bluestein_single_fwd_len1500_dim1_half_op_CI_CI
	.p2align	8
	.type	bluestein_single_fwd_len1500_dim1_half_op_CI_CI,@function
bluestein_single_fwd_len1500_dim1_half_op_CI_CI: ; @bluestein_single_fwd_len1500_dim1_half_op_CI_CI
; %bb.0:
	s_load_dwordx4 s[16:19], s[4:5], 0x28
	v_mul_u32_u24_e32 v1, 0x1b5, v0
	v_mov_b32_e32 v17, 0
	s_mov_b32 s0, exec_lo
	v_lshrrev_b32_e32 v1, 16, v1
	v_add_nc_u32_e32 v16, s6, v1
	s_waitcnt lgkmcnt(0)
	v_cmpx_gt_u64_e64 s[16:17], v[16:17]
	s_cbranch_execz .LBB0_10
; %bb.1:
	s_clause 0x1
	s_load_dwordx4 s[0:3], s[4:5], 0x18
	s_load_dwordx4 s[12:15], s[4:5], 0x0
	v_mul_lo_u16 v1, 0x96, v1
	v_sub_nc_u16 v17, v0, v1
	v_and_b32_e32 v42, 0xffff, v17
	v_lshlrev_b32_e32 v38, 2, v42
	s_waitcnt lgkmcnt(0)
	s_load_dwordx4 s[8:11], s[0:1], 0x0
	s_clause 0x1
	global_load_dword v44, v38, s[12:13]
	global_load_dword v43, v38, s[12:13] offset:1200
	v_add_co_u32 v8, s0, s12, v38
	v_add_co_ci_u32_e64 v9, null, s13, 0, s0
	v_add_nc_u32_e32 v18, 0x400, v38
	v_add_nc_u32_e32 v21, 0x800, v38
	;; [unrolled: 1-line block ×4, first 2 shown]
	s_waitcnt lgkmcnt(0)
	v_mad_u64_u32 v[0:1], null, s10, v16, 0
	v_mad_u64_u32 v[2:3], null, s8, v42, 0
	s_mul_i32 s0, s9, 0x4b0
	s_mul_hi_u32 s1, s8, 0x4b0
	s_mul_i32 s6, s8, 0x4b0
	s_add_i32 s1, s1, s0
	s_mul_i32 s0, s9, 0xffffef98
	v_mad_u64_u32 v[4:5], null, s11, v16, v[1:2]
	v_mov_b32_e32 v1, v3
	s_sub_i32 s0, s0, s8
	v_mad_u64_u32 v[5:6], null, s9, v42, v[1:2]
	v_mov_b32_e32 v1, v4
	v_add_co_u32 v4, vcc_lo, 0x800, v8
	v_lshlrev_b64 v[0:1], 2, v[0:1]
	v_mov_b32_e32 v3, v5
	v_add_co_ci_u32_e32 v5, vcc_lo, 0, v9, vcc_lo
	v_lshlrev_b64 v[2:3], 2, v[2:3]
	v_add_co_u32 v0, vcc_lo, s18, v0
	v_add_co_ci_u32_e32 v1, vcc_lo, s19, v1, vcc_lo
	global_load_dword v41, v[4:5], off offset:352
	v_add_co_u32 v0, vcc_lo, v0, v2
	v_add_co_ci_u32_e32 v1, vcc_lo, v1, v3, vcc_lo
	v_add_co_u32 v2, vcc_lo, v0, s6
	v_add_co_ci_u32_e32 v3, vcc_lo, s1, v1, vcc_lo
	s_clause 0x1
	global_load_dword v10, v[0:1], off
	global_load_dword v11, v[2:3], off
	v_add_co_u32 v0, vcc_lo, v2, s6
	v_add_co_ci_u32_e32 v1, vcc_lo, s1, v3, vcc_lo
	v_add_co_u32 v2, vcc_lo, v0, s6
	v_add_co_ci_u32_e32 v3, vcc_lo, s1, v1, vcc_lo
	global_load_dword v12, v[0:1], off
	global_load_dword v40, v[4:5], off offset:1552
	global_load_dword v13, v[2:3], off
	v_add_co_u32 v6, vcc_lo, v2, s6
	v_add_co_ci_u32_e32 v7, vcc_lo, s1, v3, vcc_lo
	v_add_co_u32 v2, vcc_lo, 0x1000, v8
	v_add_co_ci_u32_e32 v3, vcc_lo, 0, v9, vcc_lo
	v_mad_u64_u32 v[0:1], null, 0xffffef98, s8, v[6:7]
	global_load_dword v14, v[6:7], off
	s_clause 0x2
	global_load_dword v36, v38, s[12:13] offset:1800
	global_load_dword v39, v[2:3], off offset:704
	global_load_dword v37, v38, s[12:13] offset:600
	v_and_b32_e32 v9, 0xff, v17
	v_add_nc_u32_e32 v1, s0, v1
	v_add_co_u32 v6, vcc_lo, v0, s6
	v_add_co_ci_u32_e32 v7, vcc_lo, s1, v1, vcc_lo
	global_load_dword v15, v[0:1], off
	v_add_co_u32 v0, vcc_lo, v6, s6
	v_add_co_ci_u32_e32 v1, vcc_lo, s1, v7, vcc_lo
	global_load_dword v20, v[6:7], off
	v_add_co_u32 v6, vcc_lo, v0, s6
	v_add_co_ci_u32_e32 v7, vcc_lo, s1, v1, vcc_lo
	global_load_dword v23, v[0:1], off
	v_add_co_u32 v0, vcc_lo, v6, s6
	v_add_co_ci_u32_e32 v1, vcc_lo, s1, v7, vcc_lo
	global_load_dword v35, v[4:5], off offset:952
	global_load_dword v4, v[6:7], off
	global_load_dword v0, v[0:1], off
	s_clause 0x1
	global_load_dword v33, v[2:3], off offset:1304
	global_load_dword v34, v[2:3], off offset:104
	v_mul_lo_u16 v1, 0xcd, v9
	s_load_dwordx4 s[8:11], s[2:3], 0x0
	v_mul_lo_u16 v9, v9, 41
	s_load_dwordx2 s[2:3], s[4:5], 0x38
	v_cmp_gt_u16_e32 vcc_lo, 50, v17
	v_lshrrev_b16 v8, 10, v1
	v_mul_lo_u16 v24, v8, 5
	s_waitcnt vmcnt(16)
	v_lshrrev_b32_e32 v2, 16, v10
	v_mul_f16_sdwa v1, v44, v10 dst_sel:DWORD dst_unused:UNUSED_PAD src0_sel:WORD_1 src1_sel:DWORD
	s_waitcnt vmcnt(15)
	v_lshrrev_b32_e32 v5, 16, v11
	v_mul_f16_sdwa v6, v43, v11 dst_sel:DWORD dst_unused:UNUSED_PAD src0_sel:WORD_1 src1_sel:DWORD
	v_mul_f16_sdwa v3, v44, v2 dst_sel:DWORD dst_unused:UNUSED_PAD src0_sel:WORD_1 src1_sel:DWORD
	v_fma_f16 v1, v44, v2, -v1
	v_mul_f16_sdwa v2, v43, v5 dst_sel:DWORD dst_unused:UNUSED_PAD src0_sel:WORD_1 src1_sel:DWORD
	v_fma_f16 v5, v43, v5, -v6
	v_fmac_f16_e32 v3, v44, v10
	s_waitcnt vmcnt(14)
	v_lshrrev_b32_e32 v6, 16, v12
	v_mul_f16_sdwa v7, v41, v12 dst_sel:DWORD dst_unused:UNUSED_PAD src0_sel:WORD_1 src1_sel:DWORD
	v_fmac_f16_e32 v2, v43, v11
	v_pack_b32_f16 v1, v3, v1
	s_waitcnt vmcnt(12)
	v_lshrrev_b32_e32 v3, 16, v13
	v_mul_f16_sdwa v10, v41, v6 dst_sel:DWORD dst_unused:UNUSED_PAD src0_sel:WORD_1 src1_sel:DWORD
	v_fma_f16 v6, v41, v6, -v7
	v_mul_f16_sdwa v7, v40, v13 dst_sel:DWORD dst_unused:UNUSED_PAD src0_sel:WORD_1 src1_sel:DWORD
	v_pack_b32_f16 v2, v2, v5
	v_mul_f16_sdwa v5, v40, v3 dst_sel:DWORD dst_unused:UNUSED_PAD src0_sel:WORD_1 src1_sel:DWORD
	v_fmac_f16_e32 v10, v41, v12
	s_waitcnt vmcnt(11)
	v_lshrrev_b32_e32 v11, 16, v14
	v_fma_f16 v3, v40, v3, -v7
	s_waitcnt vmcnt(9)
	v_mul_f16_sdwa v7, v39, v14 dst_sel:DWORD dst_unused:UNUSED_PAD src0_sel:WORD_1 src1_sel:DWORD
	v_fmac_f16_e32 v5, v40, v13
	v_pack_b32_f16 v6, v10, v6
	v_mul_f16_sdwa v12, v39, v11 dst_sel:DWORD dst_unused:UNUSED_PAD src0_sel:WORD_1 src1_sel:DWORD
	ds_write_b32 v38, v2 offset:1200
	v_fma_f16 v2, v39, v11, -v7
	v_pack_b32_f16 v3, v5, v3
	ds_write_b32 v38, v6 offset:2400
	v_fmac_f16_e32 v12, v39, v14
	ds_write_b32 v38, v3 offset:3600
	s_waitcnt vmcnt(7)
	v_lshrrev_b32_e32 v5, 16, v15
	v_mul_f16_sdwa v6, v37, v15 dst_sel:DWORD dst_unused:UNUSED_PAD src0_sel:WORD_1 src1_sel:DWORD
	v_pack_b32_f16 v2, v12, v2
	s_waitcnt vmcnt(6)
	v_lshrrev_b32_e32 v3, 16, v20
	v_mul_f16_sdwa v7, v37, v5 dst_sel:DWORD dst_unused:UNUSED_PAD src0_sel:WORD_1 src1_sel:DWORD
	v_fma_f16 v5, v37, v5, -v6
	v_mul_f16_sdwa v6, v36, v20 dst_sel:DWORD dst_unused:UNUSED_PAD src0_sel:WORD_1 src1_sel:DWORD
	ds_write_b32 v38, v2 offset:4800
	s_waitcnt vmcnt(5)
	v_lshrrev_b32_e32 v10, 16, v23
	v_mul_f16_sdwa v2, v36, v3 dst_sel:DWORD dst_unused:UNUSED_PAD src0_sel:WORD_1 src1_sel:DWORD
	v_fmac_f16_e32 v7, v37, v15
	v_fma_f16 v3, v36, v3, -v6
	s_waitcnt vmcnt(4)
	v_mul_f16_sdwa v6, v35, v23 dst_sel:DWORD dst_unused:UNUSED_PAD src0_sel:WORD_1 src1_sel:DWORD
	s_waitcnt vmcnt(3)
	v_lshrrev_b32_e32 v11, 16, v4
	s_waitcnt vmcnt(2)
	v_lshrrev_b32_e32 v13, 16, v0
	v_mul_f16_sdwa v12, v35, v10 dst_sel:DWORD dst_unused:UNUSED_PAD src0_sel:WORD_1 src1_sel:DWORD
	v_fmac_f16_e32 v2, v36, v20
	v_fma_f16 v6, v35, v10, -v6
	s_waitcnt vmcnt(0)
	v_mul_f16_sdwa v10, v34, v4 dst_sel:DWORD dst_unused:UNUSED_PAD src0_sel:WORD_1 src1_sel:DWORD
	v_mul_f16_sdwa v14, v34, v11 dst_sel:DWORD dst_unused:UNUSED_PAD src0_sel:WORD_1 src1_sel:DWORD
	v_mul_f16_sdwa v15, v33, v0 dst_sel:DWORD dst_unused:UNUSED_PAD src0_sel:WORD_1 src1_sel:DWORD
	v_mul_f16_sdwa v20, v33, v13 dst_sel:DWORD dst_unused:UNUSED_PAD src0_sel:WORD_1 src1_sel:DWORD
	v_fmac_f16_e32 v12, v35, v23
	v_fma_f16 v10, v34, v11, -v10
	v_fmac_f16_e32 v14, v34, v4
	v_fma_f16 v4, v33, v13, -v15
	v_fmac_f16_e32 v20, v33, v0
	v_pack_b32_f16 v0, v7, v5
	v_pack_b32_f16 v2, v2, v3
	;; [unrolled: 1-line block ×5, first 2 shown]
	ds_write2_b32 v38, v1, v0 offset1:150
	ds_write_b32 v38, v2 offset:1800
	ds_write_b32 v38, v3 offset:3000
	;; [unrolled: 1-line block ×4, first 2 shown]
	s_waitcnt lgkmcnt(0)
	s_barrier
	buffer_gl0_inv
	ds_read2_b32 v[0:1], v38 offset1:150
	ds_read2_b32 v[2:3], v18 offset0:44 offset1:194
	ds_read2_b32 v[4:5], v21 offset0:88 offset1:238
	;; [unrolled: 1-line block ×4, first 2 shown]
	v_add_co_u32 v20, null, 0x96, v42
	v_sub_nc_u16 v10, v17, v24
	v_mov_b32_e32 v13, 2
	v_mul_lo_u16 v14, v17, 5
	v_mul_u32_u24_e32 v15, 5, v20
	s_waitcnt lgkmcnt(0)
	v_and_b32_e32 v10, 0xff, v10
	s_barrier
	v_lshlrev_b32_sdwa v47, v13, v14 dst_sel:DWORD dst_unused:UNUSED_PAD src0_sel:DWORD src1_sel:WORD_0
	v_lshlrev_b32_e32 v46, 2, v15
	buffer_gl0_inv
	v_mad_u64_u32 v[13:14], null, v10, 36, s[14:15]
	v_pk_add_f16 v15, v1, v3
	v_pk_add_f16 v23, v0, v2
	;; [unrolled: 1-line block ×3, first 2 shown]
	v_pk_add_f16 v25, v2, v11 neg_lo:[0,1] neg_hi:[0,1]
	v_pk_add_f16 v26, v4, v6 neg_lo:[0,1] neg_hi:[0,1]
	v_pk_add_f16 v29, v2, v11
	v_pk_add_f16 v27, v2, v4 neg_lo:[0,1] neg_hi:[0,1]
	v_pk_add_f16 v28, v11, v6 neg_lo:[0,1] neg_hi:[0,1]
	v_pk_add_f16 v31, v5, v7
	v_pk_add_f16 v32, v3, v12 neg_lo:[0,1] neg_hi:[0,1]
	v_pk_add_f16 v2, v4, v2 neg_lo:[0,1] neg_hi:[0,1]
	;; [unrolled: 1-line block ×4, first 2 shown]
	v_pk_add_f16 v50, v3, v12
	v_pk_add_f16 v48, v3, v5 neg_lo:[0,1] neg_hi:[0,1]
	v_pk_add_f16 v3, v5, v3 neg_lo:[0,1] neg_hi:[0,1]
	v_pk_add_f16 v5, v15, v5
	v_pk_add_f16 v4, v23, v4
	v_pk_fma_f16 v15, v24, 0.5, v0 op_sel_hi:[1,0,1] neg_lo:[1,0,0] neg_hi:[1,0,0]
	v_pk_mul_f16 v23, 0x3b9c, v25 op_sel_hi:[0,1]
	v_pk_mul_f16 v24, 0x38b4, v26 op_sel_hi:[0,1]
	v_pk_fma_f16 v0, v29, 0.5, v0 op_sel_hi:[1,0,1] neg_lo:[1,0,0] neg_hi:[1,0,0]
	v_pk_mul_f16 v26, 0x3b9c, v26 op_sel_hi:[0,1]
	v_pk_add_f16 v27, v27, v28
	v_pk_fma_f16 v28, v31, 0.5, v1 op_sel_hi:[1,0,1] neg_lo:[1,0,0] neg_hi:[1,0,0]
	v_pk_mul_f16 v29, 0x3b9c, v32 op_sel_hi:[0,1]
	v_pk_add_f16 v2, v2, v30
	v_pk_mul_f16 v30, 0x38b4, v45 op_sel_hi:[0,1]
	v_pk_fma_f16 v1, v50, 0.5, v1 op_sel_hi:[1,0,1] neg_lo:[1,0,0] neg_hi:[1,0,0]
	v_pk_mul_f16 v45, 0x3b9c, v45 op_sel_hi:[0,1]
	v_pk_add_f16 v49, v12, v7 neg_lo:[0,1] neg_hi:[0,1]
	v_pk_add_f16 v51, v7, v12 neg_lo:[0,1] neg_hi:[0,1]
	v_pk_add_f16 v5, v5, v7
	v_pk_add_f16 v4, v4, v6
	v_pk_add_f16 v6, v15, v23 op_sel:[0,1] op_sel_hi:[1,0]
	v_pk_add_f16 v7, v15, v23 op_sel:[0,1] op_sel_hi:[1,0] neg_lo:[0,1] neg_hi:[0,1]
	v_pk_mul_f16 v25, 0x38b4, v25 op_sel_hi:[0,1]
	v_pk_add_f16 v15, v0, v26 op_sel:[0,1] op_sel_hi:[1,0] neg_lo:[0,1] neg_hi:[0,1]
	v_pk_add_f16 v0, v0, v26 op_sel:[0,1] op_sel_hi:[1,0]
	v_pk_add_f16 v23, v28, v29 op_sel:[0,1] op_sel_hi:[1,0]
	v_pk_add_f16 v26, v28, v29 op_sel:[0,1] op_sel_hi:[1,0] neg_lo:[0,1] neg_hi:[0,1]
	v_pk_mul_f16 v32, 0x38b4, v32 op_sel_hi:[0,1]
	v_pk_add_f16 v28, v1, v45 op_sel:[0,1] op_sel_hi:[1,0] neg_lo:[0,1] neg_hi:[0,1]
	v_pk_add_f16 v1, v1, v45 op_sel:[0,1] op_sel_hi:[1,0]
	v_pk_add_f16 v6, v6, v24 op_sel:[0,1] op_sel_hi:[1,0]
	v_pk_add_f16 v7, v7, v24 op_sel:[0,1] op_sel_hi:[1,0] neg_lo:[0,1] neg_hi:[0,1]
	v_pk_add_f16 v4, v4, v11
	v_pk_add_f16 v11, v15, v25 op_sel:[0,1] op_sel_hi:[1,0]
	v_pk_add_f16 v0, v0, v25 op_sel:[0,1] op_sel_hi:[1,0] neg_lo:[0,1] neg_hi:[0,1]
	v_pk_add_f16 v5, v5, v12
	v_pk_add_f16 v12, v23, v30 op_sel:[0,1] op_sel_hi:[1,0]
	v_pk_add_f16 v15, v26, v30 op_sel:[0,1] op_sel_hi:[1,0] neg_lo:[0,1] neg_hi:[0,1]
	v_pk_add_f16 v23, v28, v32 op_sel:[0,1] op_sel_hi:[1,0]
	v_pk_add_f16 v1, v1, v32 op_sel:[0,1] op_sel_hi:[1,0] neg_lo:[0,1] neg_hi:[0,1]
	v_bfi_b32 v24, 0xffff, v6, v7
	v_bfi_b32 v25, 0xffff, v11, v0
	;; [unrolled: 1-line block ×4, first 2 shown]
	v_pk_add_f16 v31, v48, v49
	v_bfi_b32 v7, 0xffff, v12, v15
	v_pk_add_f16 v3, v3, v51
	v_bfi_b32 v11, 0xffff, v23, v1
	v_bfi_b32 v1, 0xffff, v1, v23
	;; [unrolled: 1-line block ×3, first 2 shown]
	v_pk_fma_f16 v15, 0x34f2, v27, v24 op_sel_hi:[0,1,1]
	v_pk_fma_f16 v23, 0x34f2, v2, v25 op_sel_hi:[0,1,1]
	;; [unrolled: 1-line block ×8, first 2 shown]
	ds_write2_b32 v47, v4, v15 offset1:1
	ds_write2_b32 v47, v23, v0 offset0:2 offset1:3
	ds_write_b32 v47, v2 offset:16
	ds_write2_b32 v46, v5, v6 offset1:1
	ds_write2_b32 v46, v7, v1 offset0:2 offset1:3
	ds_write_b32 v46, v3 offset:16
	s_waitcnt lgkmcnt(0)
	s_barrier
	buffer_gl0_inv
	s_clause 0x2
	global_load_dwordx4 v[0:3], v[13:14], off
	global_load_dwordx4 v[4:7], v[13:14], off offset:16
	global_load_dword v45, v[13:14], off offset:32
	ds_read2_b32 v[11:12], v38 offset1:150
	ds_read2_b32 v[13:14], v18 offset0:44 offset1:194
	ds_read2_b32 v[25:26], v21 offset0:88 offset1:238
	;; [unrolled: 1-line block ×4, first 2 shown]
	v_lshrrev_b16 v23, 11, v9
	v_mov_b32_e32 v15, 50
	s_waitcnt vmcnt(0) lgkmcnt(0)
	s_barrier
	buffer_gl0_inv
	v_mul_lo_u16 v9, v23, 50
	v_mul_u32_u24_sdwa v8, v8, v15 dst_sel:DWORD dst_unused:UNUSED_PAD src0_sel:WORD_0 src1_sel:DWORD
	v_sub_nc_u16 v9, v17, v9
	v_add_lshl_u32 v48, v8, v10, 2
                                        ; kill: def $vgpr17 killed $sgpr0 killed $exec
	v_and_b32_e32 v24, 0xff, v9
	v_lshrrev_b32_e32 v9, 16, v13
	v_lshrrev_b32_e32 v10, 16, v14
	;; [unrolled: 1-line block ×10, first 2 shown]
	v_mad_u64_u32 v[31:32], null, v24, 36, s[14:15]
	v_mul_f16_sdwa v55, v9, v1 dst_sel:DWORD dst_unused:UNUSED_PAD src0_sel:DWORD src1_sel:WORD_1
	v_mul_f16_sdwa v56, v13, v1 dst_sel:DWORD dst_unused:UNUSED_PAD src0_sel:DWORD src1_sel:WORD_1
	;; [unrolled: 1-line block ×18, first 2 shown]
	v_fma_f16 v13, v13, v1, -v55
	v_fma_f16 v14, v14, v2, -v57
	;; [unrolled: 1-line block ×4, first 2 shown]
	v_fmac_f16_e32 v56, v9, v1
	v_fmac_f16_e32 v58, v10, v2
	;; [unrolled: 1-line block ×4, first 2 shown]
	v_fma_f16 v9, v27, v5, -v63
	v_fmac_f16_e32 v64, v50, v5
	v_fma_f16 v10, v28, v6, -v65
	v_fmac_f16_e32 v66, v51, v6
	;; [unrolled: 2-line block ×3, first 2 shown]
	v_fmac_f16_e32 v71, v54, v0
	v_fma_f16 v12, v12, v0, -v72
	v_fma_f16 v27, v30, v45, -v69
	v_fmac_f16_e32 v70, v53, v45
	v_add_f16_e32 v28, v11, v13
	v_add_f16_e32 v29, v25, v9
	v_sub_f16_e32 v30, v13, v25
	v_sub_f16_e32 v49, v15, v9
	v_add_f16_e32 v50, v13, v15
	v_sub_f16_e32 v51, v25, v13
	v_sub_f16_e32 v52, v9, v15
	;; [unrolled: 1-line block ×4, first 2 shown]
	v_add_f16_e32 v55, v60, v64
	v_add_f16_e32 v57, v56, v68
	;; [unrolled: 1-line block ×3, first 2 shown]
	v_sub_f16_e32 v61, v60, v56
	v_sub_f16_e32 v63, v64, v68
	v_add_f16_e32 v69, v26, v10
	v_add_f16_e32 v73, v12, v14
	;; [unrolled: 1-line block ×6, first 2 shown]
	v_sub_f16_e32 v65, v14, v26
	v_sub_f16_e32 v74, v26, v14
	;; [unrolled: 1-line block ×8, first 2 shown]
	v_add_f16_e32 v30, v30, v49
	v_fma_f16 v29, -0.5, v29, v11
	v_fmac_f16_e32 v11, -0.5, v50
	v_add_f16_e32 v49, v51, v52
	v_add_f16_e32 v50, v53, v54
	v_fma_f16 v51, -0.5, v55, v8
	v_fmac_f16_e32 v8, -0.5, v57
	v_add_f16_e32 v52, v61, v63
	v_fma_f16 v54, -0.5, v69, v12
	v_fma_f16 v61, -0.5, v78, v71
	v_add_f16_e32 v25, v28, v25
	v_add_f16_e32 v28, v59, v60
	;; [unrolled: 1-line block ×4, first 2 shown]
	v_sub_f16_e32 v67, v27, v10
	v_sub_f16_e32 v86, v62, v66
	v_fmac_f16_e32 v12, -0.5, v72
	v_fmac_f16_e32 v71, -0.5, v79
	v_sub_f16_e32 v75, v10, v27
	v_sub_f16_e32 v77, v70, v66
	v_sub_f16_e32 v82, v66, v70
	v_sub_f16_e32 v84, v60, v64
	v_sub_f16_e32 v13, v13, v15
	v_add_f16_e32 v9, v25, v9
	v_add_f16_e32 v25, v28, v64
	;; [unrolled: 1-line block ×4, first 2 shown]
	v_fmamk_f16 v63, v83, 0x3b9c, v8
	v_fmac_f16_e32 v8, 0xbb9c, v83
	v_fmamk_f16 v64, v58, 0x3b9c, v54
	v_fmamk_f16 v66, v14, 0xbb9c, v61
	v_sub_f16_e32 v56, v56, v68
	v_add_f16_e32 v53, v65, v67
	v_fmamk_f16 v65, v86, 0xbb9c, v12
	v_fmac_f16_e32 v12, 0x3b9c, v86
	v_fmamk_f16 v67, v85, 0x3b9c, v71
	v_fmac_f16_e32 v71, 0xbb9c, v85
	v_fmac_f16_e32 v54, 0xbb9c, v58
	;; [unrolled: 1-line block ×3, first 2 shown]
	v_add_f16_e32 v57, v76, v77
	v_fmamk_f16 v62, v13, 0xbb9c, v51
	v_fmac_f16_e32 v51, 0x3b9c, v13
	v_add_f16_e32 v9, v9, v15
	v_add_f16_e32 v15, v25, v68
	v_fmac_f16_e32 v63, 0xb8b4, v13
	v_fmac_f16_e32 v8, 0x38b4, v13
	v_add_f16_e32 v10, v10, v27
	v_fmac_f16_e32 v64, 0x38b4, v86
	v_add_f16_e32 v13, v26, v70
	;; [unrolled: 2-line block ×3, first 2 shown]
	v_add_f16_e32 v60, v81, v82
	v_fmamk_f16 v28, v56, 0x3b9c, v29
	v_fmac_f16_e32 v29, 0xbb9c, v56
	v_fmac_f16_e32 v65, 0x38b4, v58
	;; [unrolled: 1-line block ×5, first 2 shown]
	v_fmamk_f16 v59, v84, 0xbb9c, v11
	v_fmac_f16_e32 v11, 0x3b9c, v84
	v_fmac_f16_e32 v54, 0xb8b4, v86
	;; [unrolled: 1-line block ×5, first 2 shown]
	v_add_f16_e32 v14, v9, v10
	v_sub_f16_e32 v9, v9, v10
	v_sub_f16_e32 v10, v15, v13
	v_fmac_f16_e32 v28, 0x38b4, v84
	v_fmac_f16_e32 v29, 0xb8b4, v84
	;; [unrolled: 1-line block ×10, first 2 shown]
	v_add_f16_e32 v25, v15, v13
	v_fmac_f16_e32 v62, 0xb8b4, v83
	v_mul_f16_e32 v13, 0x38b4, v66
	v_pack_b32_f16 v9, v9, v10
	v_mul_f16_e32 v10, 0xb8b4, v64
	v_fmac_f16_e32 v28, 0x34f2, v30
	v_fmac_f16_e32 v29, 0x34f2, v30
	v_mul_f16_e32 v15, 0x3b9c, v67
	v_mul_f16_e32 v26, 0x34f2, v12
	;; [unrolled: 1-line block ×4, first 2 shown]
	v_fmac_f16_e32 v51, 0x38b4, v83
	v_fmac_f16_e32 v59, 0x34f2, v49
	v_fmac_f16_e32 v11, 0x34f2, v49
	v_pack_b32_f16 v14, v14, v25
	v_mul_f16_e32 v25, 0x3a79, v54
	v_mul_f16_e32 v49, 0x3a79, v61
	v_fmac_f16_e32 v62, 0x34f2, v50
	v_fmac_f16_e32 v13, 0x3a79, v64
	;; [unrolled: 1-line block ×6, first 2 shown]
	v_fma_f16 v26, v71, 0x3b9c, -v26
	v_fmac_f16_e32 v27, 0x34f2, v67
	v_fma_f16 v12, v12, 0xbb9c, -v30
	v_fmac_f16_e32 v51, 0x34f2, v50
	v_fma_f16 v25, v61, 0x38b4, -v25
	v_fma_f16 v30, v54, 0xb8b4, -v49
	v_add_f16_e32 v49, v28, v13
	v_add_f16_e32 v54, v62, v10
	;; [unrolled: 1-line block ×4, first 2 shown]
	v_sub_f16_e32 v11, v11, v26
	v_add_f16_e32 v26, v63, v27
	v_add_f16_e32 v55, v8, v12
	;; [unrolled: 1-line block ×3, first 2 shown]
	v_sub_f16_e32 v13, v28, v13
	v_add_f16_e32 v28, v51, v30
	v_sub_f16_e32 v15, v59, v15
	v_sub_f16_e32 v10, v62, v10
	;; [unrolled: 1-line block ×6, first 2 shown]
	v_pack_b32_f16 v29, v49, v54
	v_pack_b32_f16 v26, v50, v26
	;; [unrolled: 1-line block ×8, first 2 shown]
	ds_write2_b32 v48, v14, v29 offset1:5
	ds_write2_b32 v48, v26, v30 offset0:10 offset1:15
	ds_write2_b32 v48, v28, v9 offset0:20 offset1:25
	;; [unrolled: 1-line block ×4, first 2 shown]
	s_waitcnt lgkmcnt(0)
	s_barrier
	buffer_gl0_inv
	s_clause 0x2
	global_load_dwordx4 v[8:11], v[31:32], off offset:180
	global_load_dwordx4 v[12:15], v[31:32], off offset:196
	global_load_dword v50, v[31:32], off offset:212
	v_mov_b32_e32 v31, 0x1f4
	ds_read2_b32 v[25:26], v18 offset0:44 offset1:194
	ds_read2_b32 v[27:28], v21 offset0:88 offset1:238
	;; [unrolled: 1-line block ×3, first 2 shown]
	v_add_nc_u32_e32 v51, 0xa00, v38
	v_mul_u32_u24_sdwa v23, v23, v31 dst_sel:DWORD dst_unused:UNUSED_PAD src0_sel:WORD_0 src1_sel:DWORD
	ds_read2_b32 v[21:22], v22 offset0:48 offset1:198
	ds_read2_b32 v[31:32], v38 offset1:150
	s_waitcnt vmcnt(0) lgkmcnt(0)
	s_barrier
	buffer_gl0_inv
	v_add_lshl_u32 v49, v23, v24, 2
	v_add_nc_u32_e32 v23, 0x400, v49
	v_lshrrev_b32_e32 v24, 16, v25
	v_lshrrev_b32_e32 v52, 16, v26
	;; [unrolled: 1-line block ×10, first 2 shown]
	v_mul_f16_sdwa v61, v24, v9 dst_sel:DWORD dst_unused:UNUSED_PAD src0_sel:DWORD src1_sel:WORD_1
	v_mul_f16_sdwa v62, v25, v9 dst_sel:DWORD dst_unused:UNUSED_PAD src0_sel:DWORD src1_sel:WORD_1
	;; [unrolled: 1-line block ×18, first 2 shown]
	v_fma_f16 v25, v25, v9, -v61
	v_fma_f16 v26, v26, v10, -v63
	;; [unrolled: 1-line block ×6, first 2 shown]
	v_fmac_f16_e32 v62, v24, v9
	v_fmac_f16_e32 v64, v52, v10
	;; [unrolled: 1-line block ×7, first 2 shown]
	v_fma_f16 v21, v21, v15, -v74
	v_fma_f16 v22, v22, v50, -v75
	v_fmac_f16_e32 v76, v58, v50
	v_fmac_f16_e32 v77, v60, v8
	v_fma_f16 v24, v32, v8, -v78
	v_add_f16_e32 v53, v31, v25
	v_sub_f16_e32 v54, v27, v25
	v_sub_f16_e32 v55, v29, v21
	v_add_f16_e32 v56, v28, v30
	v_add_f16_e32 v57, v26, v22
	v_sub_f16_e32 v58, v28, v26
	v_sub_f16_e32 v60, v30, v22
	v_add_f16_e32 v61, v24, v26
	v_add_f16_e32 v63, v68, v72
	;; [unrolled: 1-line block ×3, first 2 shown]
	v_sub_f16_e32 v69, v68, v64
	v_sub_f16_e32 v70, v72, v76
	v_add_f16_e32 v80, v67, v71
	v_add_f16_e32 v81, v62, v73
	;; [unrolled: 1-line block ×6, first 2 shown]
	v_sub_f16_e32 v74, v25, v27
	v_sub_f16_e32 v78, v62, v67
	;; [unrolled: 1-line block ×6, first 2 shown]
	v_add_f16_e32 v54, v54, v55
	v_sub_f16_e32 v55, v28, v30
	v_fma_f16 v56, -0.5, v56, v24
	v_fmac_f16_e32 v24, -0.5, v57
	v_sub_f16_e32 v57, v68, v72
	v_sub_f16_e32 v26, v26, v22
	;; [unrolled: 1-line block ×3, first 2 shown]
	v_add_f16_e32 v58, v58, v60
	v_fma_f16 v60, -0.5, v63, v77
	v_add_f16_e32 v63, v69, v70
	v_fma_f16 v70, -0.5, v80, v59
	v_fmac_f16_e32 v59, -0.5, v81
	v_add_f16_e32 v27, v53, v27
	v_add_f16_e32 v53, v82, v67
	;; [unrolled: 1-line block ×4, first 2 shown]
	v_fmac_f16_e32 v77, -0.5, v65
	v_sub_f16_e32 v75, v21, v29
	v_sub_f16_e32 v84, v71, v73
	;; [unrolled: 1-line block ×4, first 2 shown]
	v_fma_f16 v32, -0.5, v32, v31
	v_fmac_f16_e32 v31, -0.5, v52
	v_sub_f16_e32 v52, v67, v71
	v_sub_f16_e32 v25, v25, v21
	v_add_f16_e32 v69, v78, v79
	v_add_f16_e32 v27, v27, v29
	v_add_f16_e32 v29, v53, v71
	v_add_f16_e32 v28, v28, v30
	v_add_f16_e32 v30, v61, v72
	v_fmamk_f16 v68, v89, 0x3b9c, v59
	v_fmac_f16_e32 v59, 0xbb9c, v89
	v_fmamk_f16 v71, v64, 0x3b9c, v56
	v_fmac_f16_e32 v56, 0xbb9c, v64
	;; [unrolled: 2-line block ×3, first 2 shown]
	v_fmamk_f16 v78, v26, 0xbb9c, v60
	v_fmamk_f16 v79, v55, 0x3b9c, v77
	v_fmac_f16_e32 v77, 0xbb9c, v55
	v_fmac_f16_e32 v60, 0x3b9c, v26
	v_sub_f16_e32 v83, v67, v62
	v_sub_f16_e32 v62, v62, v73
	v_add_f16_e32 v65, v74, v75
	v_add_f16_e32 v75, v85, v86
	v_add_f16_e32 v66, v87, v88
	v_fmamk_f16 v67, v25, 0xbb9c, v70
	v_fmac_f16_e32 v70, 0x3b9c, v25
	v_add_f16_e32 v21, v27, v21
	v_add_f16_e32 v27, v29, v73
	v_fmac_f16_e32 v68, 0xb8b4, v25
	v_fmac_f16_e32 v59, 0x38b4, v25
	v_add_f16_e32 v22, v28, v22
	v_fmac_f16_e32 v71, 0x38b4, v57
	v_fmac_f16_e32 v56, 0xb8b4, v57
	;; [unrolled: 1-line block ×3, first 2 shown]
	v_add_f16_e32 v25, v30, v76
	v_fmac_f16_e32 v78, 0xb8b4, v55
	v_fmac_f16_e32 v72, 0x38b4, v64
	;; [unrolled: 1-line block ×4, first 2 shown]
	v_fmamk_f16 v61, v52, 0xbb9c, v31
	v_fmac_f16_e32 v31, 0x3b9c, v52
	v_fmac_f16_e32 v60, 0x38b4, v55
	v_fmamk_f16 v53, v62, 0x3b9c, v32
	v_fmac_f16_e32 v32, 0xbb9c, v62
	v_fmac_f16_e32 v24, 0x34f2, v58
	;; [unrolled: 1-line block ×4, first 2 shown]
	v_add_f16_e32 v26, v21, v22
	v_sub_f16_e32 v21, v21, v22
	v_add_f16_e32 v22, v27, v25
	v_sub_f16_e32 v25, v27, v25
	v_fmac_f16_e32 v78, 0x34f2, v66
	v_fmac_f16_e32 v77, 0x34f2, v63
	;; [unrolled: 1-line block ×10, first 2 shown]
	v_mul_f16_e32 v27, 0x34f2, v24
	v_pack_b32_f16 v22, v26, v22
	v_pack_b32_f16 v21, v21, v25
	v_mul_f16_e32 v25, 0x38b4, v78
	v_mul_f16_e32 v26, 0xb8b4, v71
	;; [unrolled: 1-line block ×3, first 2 shown]
	v_add_f16_e32 v74, v83, v84
	v_mul_f16_e32 v28, 0x3b9c, v79
	v_mul_f16_e32 v29, 0xbb9c, v72
	;; [unrolled: 1-line block ×3, first 2 shown]
	v_fmac_f16_e32 v70, 0x38b4, v89
	v_fmac_f16_e32 v31, 0x34f2, v54
	;; [unrolled: 1-line block ×3, first 2 shown]
	v_mul_f16_e32 v54, 0x3a79, v60
	v_fmac_f16_e32 v53, 0x34f2, v65
	v_fmac_f16_e32 v32, 0x34f2, v65
	;; [unrolled: 1-line block ×3, first 2 shown]
	v_fma_f16 v27, v77, 0x3b9c, -v27
	v_fmac_f16_e32 v25, 0x3a79, v71
	v_fmac_f16_e32 v26, 0x3a79, v78
	v_fma_f16 v30, v60, 0x38b4, -v30
	v_fmac_f16_e32 v68, 0x34f2, v74
	v_fmac_f16_e32 v59, 0x34f2, v74
	;; [unrolled: 1-line block ×4, first 2 shown]
	v_fma_f16 v24, v24, 0xbb9c, -v52
	v_fmac_f16_e32 v70, 0x34f2, v69
	v_fma_f16 v54, v56, 0xb8b4, -v54
	v_add_f16_e32 v55, v31, v27
	v_sub_f16_e32 v27, v31, v27
	v_add_f16_e32 v31, v53, v25
	v_add_f16_e32 v57, v32, v30
	v_sub_f16_e32 v52, v32, v30
	v_add_f16_e32 v30, v67, v26
	v_add_f16_e32 v56, v61, v28
	;; [unrolled: 1-line block ×4, first 2 shown]
	v_sub_f16_e32 v24, v59, v24
	v_add_f16_e32 v59, v70, v54
	v_sub_f16_e32 v25, v53, v25
	v_sub_f16_e32 v28, v61, v28
	;; [unrolled: 1-line block ×5, first 2 shown]
	v_pack_b32_f16 v30, v31, v30
	v_pack_b32_f16 v31, v56, v32
	;; [unrolled: 1-line block ×8, first 2 shown]
	ds_write2_b32 v49, v22, v30 offset1:50
	ds_write2_b32 v49, v31, v32 offset0:100 offset1:150
	ds_write2_b32 v49, v54, v21 offset0:200 offset1:250
	;; [unrolled: 1-line block ×4, first 2 shown]
	s_waitcnt lgkmcnt(0)
	s_barrier
	buffer_gl0_inv
	ds_read2_b32 v[27:28], v38 offset1:150
	ds_read2_b32 v[25:26], v18 offset0:44 offset1:244
	ds_read2_b32 v[31:32], v19 offset0:104 offset1:254
	ds_read2_b32 v[29:30], v51 offset0:10 offset1:160
	ds_read_b32 v58, v38 offset:5200
                                        ; implicit-def: $vgpr54
                                        ; implicit-def: $vgpr56
                                        ; implicit-def: $vgpr55
                                        ; implicit-def: $vgpr57
	s_and_saveexec_b32 s0, vcc_lo
	s_cbranch_execz .LBB0_3
; %bb.2:
	ds_read_b32 v52, v38 offset:1800
	ds_read_b32 v54, v38 offset:3800
	;; [unrolled: 1-line block ×3, first 2 shown]
	s_waitcnt lgkmcnt(2)
	v_lshrrev_b32_e32 v53, 16, v52
	s_waitcnt lgkmcnt(1)
	v_lshrrev_b32_e32 v56, 16, v54
	;; [unrolled: 2-line block ×3, first 2 shown]
.LBB0_3:
	s_or_b32 exec_lo, exec_lo, s0
	v_lshlrev_b32_e32 v17, 3, v42
	v_lshlrev_b32_e32 v18, 3, v20
	s_waitcnt lgkmcnt(2)
	v_lshrrev_b32_e32 v61, 16, v31
	s_waitcnt lgkmcnt(1)
	v_lshrrev_b32_e32 v63, 16, v29
	v_lshrrev_b32_e32 v64, 16, v32
	s_clause 0x1
	global_load_dwordx2 v[23:24], v17, s[14:15] offset:1980
	global_load_dwordx2 v[21:22], v18, s[14:15] offset:1980
	v_add_nc_u32_e32 v17, 0x960, v17
	v_lshrrev_b32_e32 v66, 16, v30
	s_waitcnt lgkmcnt(0)
	v_lshrrev_b32_e32 v67, 16, v58
	v_lshrrev_b32_e32 v62, 16, v28
	;; [unrolled: 1-line block ×3, first 2 shown]
	global_load_dwordx2 v[19:20], v17, s[14:15] offset:1980
	v_add_co_u32 v17, s0, 0x1c2, v42
	v_add_co_ci_u32_e64 v18, null, 0, 0, s0
	v_add_co_u32 v59, s0, 0xffffffce, v42
	v_add_co_ci_u32_e64 v60, null, 0, -1, s0
	v_add_nc_u32_e32 v68, 0x1100, v38
	v_cndmask_b32_e32 v17, v59, v17, vcc_lo
	v_lshrrev_b32_e32 v59, 16, v27
	v_cndmask_b32_e32 v18, v60, v18, vcc_lo
	v_lshrrev_b32_e32 v60, 16, v26
	v_lshlrev_b64 v[17:18], 3, v[17:18]
	v_add_co_u32 v17, s0, s14, v17
	v_add_co_ci_u32_e64 v18, s0, s15, v18, s0
	global_load_dwordx2 v[17:18], v[17:18], off offset:1980
	s_waitcnt vmcnt(3)
	v_mul_f16_sdwa v69, v60, v23 dst_sel:DWORD dst_unused:UNUSED_PAD src0_sel:DWORD src1_sel:WORD_1
	v_mul_f16_sdwa v70, v26, v23 dst_sel:DWORD dst_unused:UNUSED_PAD src0_sel:DWORD src1_sel:WORD_1
	v_mul_f16_sdwa v71, v61, v24 dst_sel:DWORD dst_unused:UNUSED_PAD src0_sel:DWORD src1_sel:WORD_1
	v_mul_f16_sdwa v72, v31, v24 dst_sel:DWORD dst_unused:UNUSED_PAD src0_sel:DWORD src1_sel:WORD_1
	s_waitcnt vmcnt(2)
	v_mul_f16_sdwa v73, v63, v21 dst_sel:DWORD dst_unused:UNUSED_PAD src0_sel:DWORD src1_sel:WORD_1
	v_mul_f16_sdwa v74, v29, v21 dst_sel:DWORD dst_unused:UNUSED_PAD src0_sel:DWORD src1_sel:WORD_1
	;; [unrolled: 1-line block ×4, first 2 shown]
	v_fma_f16 v26, v26, v23, -v69
	v_fmac_f16_e32 v70, v60, v23
	v_fma_f16 v31, v31, v24, -v71
	v_fmac_f16_e32 v72, v61, v24
	;; [unrolled: 2-line block ×3, first 2 shown]
	v_fma_f16 v32, v32, v22, -v75
	s_waitcnt vmcnt(1)
	v_mul_f16_sdwa v60, v66, v19 dst_sel:DWORD dst_unused:UNUSED_PAD src0_sel:DWORD src1_sel:WORD_1
	v_mul_f16_sdwa v61, v30, v19 dst_sel:DWORD dst_unused:UNUSED_PAD src0_sel:DWORD src1_sel:WORD_1
	;; [unrolled: 1-line block ×4, first 2 shown]
	v_fmac_f16_e32 v76, v64, v22
	v_fma_f16 v30, v30, v19, -v60
	v_fmac_f16_e32 v61, v66, v19
	v_fma_f16 v58, v58, v20, -v63
	v_fmac_f16_e32 v69, v67, v20
	v_add_f16_e32 v60, v27, v26
	v_add_f16_e32 v63, v26, v31
	v_sub_f16_e32 v64, v70, v72
	v_add_f16_e32 v66, v59, v70
	v_add_f16_e32 v67, v70, v72
	;; [unrolled: 1-line block ×4, first 2 shown]
	v_sub_f16_e32 v73, v74, v76
	v_add_f16_e32 v75, v62, v74
	v_add_f16_e32 v74, v74, v76
	v_sub_f16_e32 v26, v26, v31
	v_sub_f16_e32 v77, v29, v32
	v_add_f16_e32 v31, v60, v31
	v_fma_f16 v27, -0.5, v63, v27
	v_add_f16_e32 v60, v66, v72
	v_fmac_f16_e32 v59, -0.5, v67
	v_add_f16_e32 v32, v70, v32
	v_fmac_f16_e32 v28, -0.5, v71
	;; [unrolled: 2-line block ×3, first 2 shown]
	v_add_f16_e32 v66, v25, v30
	v_add_f16_e32 v67, v30, v58
	v_sub_f16_e32 v70, v61, v69
	v_add_f16_e32 v71, v65, v61
	v_add_f16_e32 v61, v61, v69
	v_sub_f16_e32 v72, v30, v58
	s_waitcnt vmcnt(0)
	v_mul_f16_sdwa v74, v56, v17 dst_sel:DWORD dst_unused:UNUSED_PAD src0_sel:DWORD src1_sel:WORD_1
	v_mul_f16_sdwa v30, v54, v17 dst_sel:DWORD dst_unused:UNUSED_PAD src0_sel:DWORD src1_sel:WORD_1
	;; [unrolled: 1-line block ×4, first 2 shown]
	v_fmamk_f16 v76, v64, 0x3aee, v27
	v_fmac_f16_e32 v27, 0xbaee, v64
	v_fmamk_f16 v64, v26, 0xbaee, v59
	v_fmac_f16_e32 v59, 0x3aee, v26
	;; [unrolled: 2-line block ×3, first 2 shown]
	v_fmamk_f16 v73, v77, 0xbaee, v62
	v_fmac_f16_e32 v65, -0.5, v61
	v_pack_b32_f16 v60, v31, v60
	v_pack_b32_f16 v61, v32, v63
	v_fma_f16 v31, v54, v17, -v74
	v_fmac_f16_e32 v30, v56, v17
	v_fma_f16 v32, v55, v18, -v75
	v_fmac_f16_e32 v29, v57, v18
	v_fmac_f16_e32 v62, 0x3aee, v77
	v_fmac_f16_e32 v25, -0.5, v67
	v_pack_b32_f16 v57, v27, v59
	v_pack_b32_f16 v59, v26, v73
	v_add_f16_e32 v26, v31, v32
	v_add_f16_e32 v27, v30, v29
	v_fmamk_f16 v54, v70, 0x3aee, v25
	v_fmac_f16_e32 v25, 0xbaee, v70
	v_fmamk_f16 v55, v72, 0xbaee, v65
	v_fmac_f16_e32 v65, 0x3aee, v72
	v_pack_b32_f16 v62, v28, v62
	v_sub_f16_e32 v28, v30, v29
	v_sub_f16_e32 v63, v31, v32
	v_fma_f16 v26, -0.5, v26, v52
	v_fma_f16 v27, -0.5, v27, v53
	v_add_f16_e32 v58, v66, v58
	v_add_f16_e32 v66, v71, v69
	v_pack_b32_f16 v56, v76, v64
	v_pack_b32_f16 v54, v54, v55
	;; [unrolled: 1-line block ×3, first 2 shown]
	v_fmamk_f16 v25, v28, 0x3aee, v26
	v_fmac_f16_e32 v26, 0xbaee, v28
	v_fmamk_f16 v28, v63, 0xbaee, v27
	v_fmac_f16_e32 v27, 0x3aee, v63
	v_pack_b32_f16 v58, v58, v66
	ds_write_b32 v38, v56 offset:2000
	ds_write_b32 v38, v57 offset:4000
	ds_write2_b32 v38, v60, v61 offset1:150
	ds_write_b32 v38, v58 offset:1200
	ds_write2_b32 v51, v59, v54 offset0:10 offset1:160
	ds_write2_b32 v68, v62, v55 offset0:62 offset1:212
	s_and_saveexec_b32 s0, vcc_lo
	s_cbranch_execz .LBB0_5
; %bb.4:
	v_add_f16_e32 v30, v53, v30
	v_add_f16_e32 v31, v52, v31
	;; [unrolled: 1-line block ×4, first 2 shown]
	v_perm_b32 v31, v28, v25, 0x5040100
	v_pack_b32_f16 v29, v30, v29
	v_perm_b32 v30, v27, v26, 0x5040100
	ds_write_b32 v38, v31 offset:3800
	ds_write_b32 v38, v29 offset:1800
	;; [unrolled: 1-line block ×3, first 2 shown]
.LBB0_5:
	s_or_b32 exec_lo, exec_lo, s0
	v_lshlrev_b32_e32 v29, 2, v42
	s_waitcnt lgkmcnt(0)
	s_barrier
	buffer_gl0_inv
	v_add_nc_u32_e32 v72, 0x1000, v38
	v_add_co_u32 v51, s0, s12, v29
	v_add_co_ci_u32_e64 v52, null, s13, 0, s0
	v_add_co_u32 v29, s0, 0x1000, v51
	v_add_co_ci_u32_e64 v30, s0, 0, v52, s0
	global_load_dword v53, v[29:30], off offset:1904
	v_add_co_u32 v29, s0, 0x1770, v51
	v_add_co_ci_u32_e64 v30, s0, 0, v52, s0
	v_add_co_u32 v31, s0, 0x2000, v51
	v_add_co_ci_u32_e64 v32, s0, 0, v52, s0
	s_clause 0x1
	global_load_dword v61, v[29:30], off offset:600
	global_load_dword v62, v[29:30], off offset:1200
	v_add_co_u32 v51, s0, 0x2800, v51
	v_add_co_ci_u32_e64 v52, s0, 0, v52, s0
	s_clause 0x6
	global_load_dword v63, v[31:32], off offset:208
	global_load_dword v64, v[31:32], off offset:1408
	;; [unrolled: 1-line block ×7, first 2 shown]
	ds_read2_b32 v[51:52], v38 offset1:150
	v_add_nc_u32_e32 v32, 0x800, v38
	s_waitcnt lgkmcnt(0)
	v_lshrrev_b32_e32 v29, 16, v51
	s_waitcnt vmcnt(9)
	v_mul_f16_sdwa v30, v29, v53 dst_sel:DWORD dst_unused:UNUSED_PAD src0_sel:DWORD src1_sel:WORD_1
	v_mul_f16_sdwa v31, v51, v53 dst_sel:DWORD dst_unused:UNUSED_PAD src0_sel:DWORD src1_sel:WORD_1
	v_fma_f16 v30, v51, v53, -v30
	v_fmac_f16_e32 v31, v29, v53
	v_add_nc_u32_e32 v29, 0x400, v38
	v_lshrrev_b32_e32 v51, 16, v52
	s_waitcnt vmcnt(8)
	v_mul_f16_sdwa v71, v52, v61 dst_sel:DWORD dst_unused:UNUSED_PAD src0_sel:DWORD src1_sel:WORD_1
	v_pack_b32_f16 v31, v30, v31
	v_add_nc_u32_e32 v30, 0xe00, v38
	v_mul_f16_sdwa v70, v51, v61 dst_sel:DWORD dst_unused:UNUSED_PAD src0_sel:DWORD src1_sel:WORD_1
	v_fmac_f16_e32 v71, v51, v61
	v_add_nc_u32_e32 v51, 0x200, v38
	ds_write_b32 v38, v31
	v_add_nc_u32_e32 v31, 0x1200, v38
	ds_read2_b32 v[53:54], v29 offset0:44 offset1:194
	ds_read2_b32 v[55:56], v32 offset0:88 offset1:238
	;; [unrolled: 1-line block ×4, first 2 shown]
	v_fma_f16 v52, v52, v61, -v70
	v_add_nc_u32_e32 v61, 0x600, v38
	v_add_nc_u32_e32 v70, 0xb00, v38
	v_pack_b32_f16 v52, v52, v71
	s_waitcnt lgkmcnt(3)
	v_lshrrev_b32_e32 v71, 16, v53
	s_waitcnt vmcnt(7)
	v_mul_f16_sdwa v73, v53, v62 dst_sel:DWORD dst_unused:UNUSED_PAD src0_sel:DWORD src1_sel:WORD_1
	s_waitcnt lgkmcnt(2)
	v_lshrrev_b32_e32 v74, 16, v55
	s_waitcnt vmcnt(6)
	v_mul_f16_sdwa v75, v55, v63 dst_sel:DWORD dst_unused:UNUSED_PAD src0_sel:DWORD src1_sel:WORD_1
	;; [unrolled: 4-line block ×4, first 2 shown]
	v_lshrrev_b32_e32 v80, 16, v54
	s_waitcnt vmcnt(3)
	v_mul_f16_sdwa v81, v54, v66 dst_sel:DWORD dst_unused:UNUSED_PAD src0_sel:DWORD src1_sel:WORD_1
	v_lshrrev_b32_e32 v82, 16, v56
	s_waitcnt vmcnt(2)
	v_mul_f16_sdwa v83, v56, v67 dst_sel:DWORD dst_unused:UNUSED_PAD src0_sel:DWORD src1_sel:WORD_1
	;; [unrolled: 3-line block ×3, first 2 shown]
	v_lshrrev_b32_e32 v86, 16, v60
	v_mul_f16_sdwa v88, v71, v62 dst_sel:DWORD dst_unused:UNUSED_PAD src0_sel:DWORD src1_sel:WORD_1
	v_fmac_f16_e32 v73, v71, v62
	v_mul_f16_sdwa v71, v74, v63 dst_sel:DWORD dst_unused:UNUSED_PAD src0_sel:DWORD src1_sel:WORD_1
	v_fmac_f16_e32 v75, v74, v63
	;; [unrolled: 2-line block ×6, first 2 shown]
	v_mul_f16_sdwa v82, v84, v68 dst_sel:DWORD dst_unused:UNUSED_PAD src0_sel:DWORD src1_sel:WORD_1
	s_waitcnt vmcnt(0)
	v_mul_f16_sdwa v87, v60, v69 dst_sel:DWORD dst_unused:UNUSED_PAD src0_sel:DWORD src1_sel:WORD_1
	v_fmac_f16_e32 v85, v84, v68
	v_mul_f16_sdwa v84, v86, v69 dst_sel:DWORD dst_unused:UNUSED_PAD src0_sel:DWORD src1_sel:WORD_1
	v_fma_f16 v53, v53, v62, -v88
	v_fma_f16 v55, v55, v63, -v71
	;; [unrolled: 1-line block ×7, first 2 shown]
	v_fmac_f16_e32 v87, v86, v69
	v_fma_f16 v60, v60, v69, -v84
	v_pack_b32_f16 v53, v53, v73
	v_pack_b32_f16 v55, v55, v75
	;; [unrolled: 1-line block ×8, first 2 shown]
	ds_write2_b32 v51, v52, v53 offset0:22 offset1:172
	ds_write2_b32 v61, v54, v55 offset0:66 offset1:216
	;; [unrolled: 1-line block ×4, first 2 shown]
	ds_write_b32 v38, v60 offset:5400
	s_waitcnt lgkmcnt(0)
	s_barrier
	buffer_gl0_inv
	ds_read2_b32 v[51:52], v38 offset1:150
	ds_read2_b32 v[53:54], v29 offset0:44 offset1:194
	ds_read2_b32 v[55:56], v32 offset0:88 offset1:238
	;; [unrolled: 1-line block ×4, first 2 shown]
	s_waitcnt lgkmcnt(0)
	s_barrier
	buffer_gl0_inv
	v_pk_add_f16 v61, v52, v54
	v_pk_add_f16 v62, v51, v53
	;; [unrolled: 1-line block ×3, first 2 shown]
	v_pk_add_f16 v64, v53, v59 neg_lo:[0,1] neg_hi:[0,1]
	v_pk_add_f16 v65, v55, v57 neg_lo:[0,1] neg_hi:[0,1]
	v_pk_add_f16 v68, v53, v59
	v_pk_add_f16 v66, v53, v55 neg_lo:[0,1] neg_hi:[0,1]
	v_pk_add_f16 v67, v59, v57 neg_lo:[0,1] neg_hi:[0,1]
	v_pk_add_f16 v70, v56, v58
	v_pk_add_f16 v71, v54, v60 neg_lo:[0,1] neg_hi:[0,1]
	v_pk_add_f16 v53, v55, v53 neg_lo:[0,1] neg_hi:[0,1]
	;; [unrolled: 1-line block ×4, first 2 shown]
	v_pk_add_f16 v75, v54, v60
	v_pk_add_f16 v73, v54, v56 neg_lo:[0,1] neg_hi:[0,1]
	v_pk_add_f16 v54, v56, v54 neg_lo:[0,1] neg_hi:[0,1]
	v_pk_add_f16 v56, v61, v56
	v_pk_add_f16 v55, v62, v55
	v_pk_fma_f16 v61, v63, 0.5, v51 op_sel_hi:[1,0,1] neg_lo:[1,0,0] neg_hi:[1,0,0]
	v_pk_mul_f16 v62, 0x3b9c, v64 op_sel_hi:[0,1]
	v_pk_mul_f16 v63, 0x38b4, v65 op_sel_hi:[0,1]
	v_pk_fma_f16 v51, v68, 0.5, v51 op_sel_hi:[1,0,1] neg_lo:[1,0,0] neg_hi:[1,0,0]
	v_pk_mul_f16 v65, 0x3b9c, v65 op_sel_hi:[0,1]
	v_pk_add_f16 v66, v66, v67
	v_pk_fma_f16 v67, v70, 0.5, v52 op_sel_hi:[1,0,1] neg_lo:[1,0,0] neg_hi:[1,0,0]
	v_pk_mul_f16 v68, 0x3b9c, v71 op_sel_hi:[0,1]
	v_pk_add_f16 v53, v53, v69
	v_pk_mul_f16 v69, 0x38b4, v72 op_sel_hi:[0,1]
	v_pk_fma_f16 v52, v75, 0.5, v52 op_sel_hi:[1,0,1] neg_lo:[1,0,0] neg_hi:[1,0,0]
	v_pk_mul_f16 v72, 0x3b9c, v72 op_sel_hi:[0,1]
	v_pk_add_f16 v74, v60, v58 neg_lo:[0,1] neg_hi:[0,1]
	v_pk_add_f16 v76, v58, v60 neg_lo:[0,1] neg_hi:[0,1]
	v_pk_add_f16 v56, v56, v58
	v_pk_add_f16 v55, v55, v57
	v_pk_add_f16 v57, v61, v62 op_sel:[0,1] op_sel_hi:[1,0] neg_lo:[0,1] neg_hi:[0,1]
	v_pk_add_f16 v58, v61, v62 op_sel:[0,1] op_sel_hi:[1,0]
	v_pk_mul_f16 v64, 0x38b4, v64 op_sel_hi:[0,1]
	v_pk_add_f16 v61, v51, v65 op_sel:[0,1] op_sel_hi:[1,0]
	v_pk_add_f16 v51, v51, v65 op_sel:[0,1] op_sel_hi:[1,0] neg_lo:[0,1] neg_hi:[0,1]
	v_pk_add_f16 v62, v67, v68 op_sel:[0,1] op_sel_hi:[1,0] neg_lo:[0,1] neg_hi:[0,1]
	v_pk_add_f16 v65, v67, v68 op_sel:[0,1] op_sel_hi:[1,0]
	v_pk_mul_f16 v71, 0x38b4, v71 op_sel_hi:[0,1]
	v_pk_add_f16 v67, v52, v72 op_sel:[0,1] op_sel_hi:[1,0]
	v_pk_add_f16 v52, v52, v72 op_sel:[0,1] op_sel_hi:[1,0] neg_lo:[0,1] neg_hi:[0,1]
	v_pk_add_f16 v57, v57, v63 op_sel:[0,1] op_sel_hi:[1,0] neg_lo:[0,1] neg_hi:[0,1]
	v_pk_add_f16 v58, v58, v63 op_sel:[0,1] op_sel_hi:[1,0]
	v_pk_add_f16 v55, v55, v59
	v_pk_add_f16 v59, v61, v64 op_sel:[0,1] op_sel_hi:[1,0] neg_lo:[0,1] neg_hi:[0,1]
	v_pk_add_f16 v51, v51, v64 op_sel:[0,1] op_sel_hi:[1,0]
	v_pk_add_f16 v56, v56, v60
	v_pk_add_f16 v60, v62, v69 op_sel:[0,1] op_sel_hi:[1,0] neg_lo:[0,1] neg_hi:[0,1]
	v_pk_add_f16 v61, v65, v69 op_sel:[0,1] op_sel_hi:[1,0]
	v_pk_add_f16 v62, v67, v71 op_sel:[0,1] op_sel_hi:[1,0] neg_lo:[0,1] neg_hi:[0,1]
	v_pk_add_f16 v52, v52, v71 op_sel:[0,1] op_sel_hi:[1,0]
	v_bfi_b32 v63, 0xffff, v57, v58
	v_bfi_b32 v64, 0xffff, v59, v51
	;; [unrolled: 1-line block ×4, first 2 shown]
	v_pk_add_f16 v70, v73, v74
	v_bfi_b32 v58, 0xffff, v60, v61
	v_pk_add_f16 v54, v54, v76
	v_bfi_b32 v59, 0xffff, v62, v52
	v_bfi_b32 v52, 0xffff, v52, v62
	;; [unrolled: 1-line block ×3, first 2 shown]
	v_pk_fma_f16 v61, 0x34f2, v66, v63 op_sel_hi:[0,1,1]
	v_pk_fma_f16 v62, 0x34f2, v53, v64 op_sel_hi:[0,1,1]
	;; [unrolled: 1-line block ×8, first 2 shown]
	ds_write2_b32 v47, v55, v61 offset1:1
	ds_write2_b32 v47, v62, v51 offset0:2 offset1:3
	ds_write_b32 v47, v53 offset:16
	ds_write2_b32 v46, v56, v57 offset1:1
	ds_write2_b32 v46, v58, v52 offset0:2 offset1:3
	ds_write_b32 v46, v54 offset:16
	s_waitcnt lgkmcnt(0)
	s_barrier
	buffer_gl0_inv
	ds_read2_b32 v[46:47], v38 offset1:150
	ds_read2_b32 v[51:52], v29 offset0:44 offset1:194
	ds_read2_b32 v[53:54], v32 offset0:88 offset1:238
	;; [unrolled: 1-line block ×4, first 2 shown]
	s_waitcnt lgkmcnt(0)
	s_barrier
	buffer_gl0_inv
	v_lshrrev_b32_e32 v60, 16, v47
	v_lshrrev_b32_e32 v61, 16, v51
	v_lshrrev_b32_e32 v62, 16, v52
	v_lshrrev_b32_e32 v63, 16, v53
	v_lshrrev_b32_e32 v64, 16, v54
	v_lshrrev_b32_e32 v65, 16, v55
	v_lshrrev_b32_e32 v66, 16, v56
	v_lshrrev_b32_e32 v67, 16, v57
	v_lshrrev_b32_e32 v68, 16, v58
	v_mul_f16_sdwa v69, v0, v47 dst_sel:DWORD dst_unused:UNUSED_PAD src0_sel:WORD_1 src1_sel:DWORD
	v_mul_f16_sdwa v70, v1, v51 dst_sel:DWORD dst_unused:UNUSED_PAD src0_sel:WORD_1 src1_sel:DWORD
	;; [unrolled: 1-line block ×9, first 2 shown]
	v_lshrrev_b32_e32 v59, 16, v46
	v_mul_f16_sdwa v78, v0, v60 dst_sel:DWORD dst_unused:UNUSED_PAD src0_sel:WORD_1 src1_sel:DWORD
	v_fma_f16 v60, v0, v60, -v69
	v_mul_f16_sdwa v69, v1, v61 dst_sel:DWORD dst_unused:UNUSED_PAD src0_sel:WORD_1 src1_sel:DWORD
	v_fma_f16 v61, v1, v61, -v70
	;; [unrolled: 2-line block ×9, first 2 shown]
	v_fmac_f16_e32 v69, v1, v51
	v_fmac_f16_e32 v70, v2, v52
	;; [unrolled: 1-line block ×8, first 2 shown]
	v_add_f16_e32 v2, v59, v61
	v_add_f16_e32 v3, v63, v65
	v_sub_f16_e32 v4, v61, v63
	v_sub_f16_e32 v5, v67, v65
	v_add_f16_e32 v6, v61, v67
	v_sub_f16_e32 v7, v63, v61
	v_sub_f16_e32 v45, v65, v67
	v_add_f16_e32 v52, v60, v62
	v_add_f16_e32 v53, v64, v66
	v_fmac_f16_e32 v78, v0, v47
	v_add_f16_e32 v56, v62, v68
	v_sub_f16_e32 v0, v61, v67
	v_sub_f16_e32 v1, v63, v65
	;; [unrolled: 1-line block ×5, first 2 shown]
	v_add_f16_e32 v61, v46, v69
	v_sub_f16_e32 v77, v69, v71
	v_add_f16_e32 v80, v69, v75
	v_sub_f16_e32 v81, v71, v69
	v_add_f16_e32 v2, v2, v63
	v_fma_f16 v3, -0.5, v3, v59
	v_sub_f16_e32 v63, v69, v75
	v_sub_f16_e32 v69, v71, v73
	v_add_f16_e32 v4, v4, v5
	v_fmac_f16_e32 v59, -0.5, v6
	v_add_f16_e32 v5, v7, v45
	v_add_f16_e32 v7, v72, v74
	;; [unrolled: 1-line block ×3, first 2 shown]
	v_fma_f16 v53, -0.5, v53, v60
	v_sub_f16_e32 v64, v70, v76
	v_add_f16_e32 v6, v78, v70
	v_sub_f16_e32 v45, v70, v72
	v_add_f16_e32 v84, v70, v76
	v_sub_f16_e32 v85, v72, v70
	v_sub_f16_e32 v70, v72, v74
	v_fmac_f16_e32 v60, -0.5, v56
	v_sub_f16_e32 v47, v62, v68
	v_sub_f16_e32 v55, v68, v66
	;; [unrolled: 1-line block ×3, first 2 shown]
	v_add_f16_e32 v62, v71, v73
	v_add_f16_e32 v2, v2, v65
	v_fmamk_f16 v65, v69, 0xbb9c, v59
	v_fmac_f16_e32 v59, 0x3b9c, v69
	v_fma_f16 v7, -0.5, v7, v78
	v_add_f16_e32 v52, v52, v66
	v_fmamk_f16 v66, v64, 0x3b9c, v53
	v_add_f16_e32 v6, v6, v72
	v_fmac_f16_e32 v78, -0.5, v84
	v_fmamk_f16 v72, v70, 0xbb9c, v60
	v_fmac_f16_e32 v60, 0x3b9c, v70
	v_fmac_f16_e32 v53, 0xbb9c, v64
	v_sub_f16_e32 v79, v75, v73
	v_sub_f16_e32 v83, v76, v74
	v_add_f16_e32 v54, v54, v55
	v_add_f16_e32 v55, v57, v58
	;; [unrolled: 1-line block ×3, first 2 shown]
	v_fma_f16 v57, -0.5, v62, v46
	v_fmac_f16_e32 v46, -0.5, v80
	v_fmamk_f16 v62, v63, 0x3b9c, v3
	v_fmac_f16_e32 v3, 0xbb9c, v63
	v_fmac_f16_e32 v65, 0x38b4, v63
	;; [unrolled: 1-line block ×3, first 2 shown]
	v_fmamk_f16 v63, v47, 0xbb9c, v7
	v_fmac_f16_e32 v66, 0x38b4, v70
	v_sub_f16_e32 v86, v74, v76
	v_add_f16_e32 v2, v2, v67
	v_fmac_f16_e32 v7, 0x3b9c, v47
	v_fmamk_f16 v67, v51, 0x3b9c, v78
	v_fmac_f16_e32 v78, 0xbb9c, v51
	v_fmac_f16_e32 v72, 0x38b4, v64
	;; [unrolled: 1-line block ×4, first 2 shown]
	v_sub_f16_e32 v82, v73, v75
	v_add_f16_e32 v58, v77, v79
	v_add_f16_e32 v45, v45, v83
	;; [unrolled: 1-line block ×3, first 2 shown]
	v_fmamk_f16 v73, v0, 0xbb9c, v57
	v_fmamk_f16 v77, v1, 0x3b9c, v46
	v_fmac_f16_e32 v46, 0xbb9c, v1
	v_add_f16_e32 v6, v6, v74
	v_fmac_f16_e32 v63, 0xb8b4, v51
	v_fmac_f16_e32 v66, 0x34f2, v54
	v_add_f16_e32 v71, v85, v86
	v_fmac_f16_e32 v57, 0x3b9c, v0
	v_add_f16_e32 v52, v52, v68
	v_fmac_f16_e32 v7, 0x38b4, v51
	v_fmac_f16_e32 v67, 0xb8b4, v47
	;; [unrolled: 1-line block ×8, first 2 shown]
	v_add_f16_e32 v56, v56, v75
	v_fmac_f16_e32 v73, 0xb8b4, v1
	v_fmac_f16_e32 v77, 0xb8b4, v0
	;; [unrolled: 1-line block ×5, first 2 shown]
	v_add_f16_e32 v0, v6, v76
	v_fmac_f16_e32 v63, 0x34f2, v45
	v_mul_f16_e32 v5, 0xb8b4, v66
	v_mul_f16_e32 v51, 0x3a79, v66
	v_add_f16_e32 v61, v81, v82
	v_fmac_f16_e32 v57, 0x38b4, v1
	v_add_f16_e32 v1, v2, v52
	v_sub_f16_e32 v2, v2, v52
	v_fmac_f16_e32 v7, 0x34f2, v45
	v_fmac_f16_e32 v67, 0x34f2, v71
	;; [unrolled: 1-line block ×3, first 2 shown]
	v_mul_f16_e32 v6, 0xbb9c, v72
	v_mul_f16_e32 v45, 0xbb9c, v60
	;; [unrolled: 1-line block ×6, first 2 shown]
	v_fmac_f16_e32 v62, 0x34f2, v4
	v_fmac_f16_e32 v3, 0x34f2, v4
	;; [unrolled: 1-line block ×3, first 2 shown]
	v_add_f16_e32 v4, v56, v0
	v_sub_f16_e32 v0, v56, v0
	v_fmac_f16_e32 v5, 0x3a79, v63
	v_fmac_f16_e32 v51, 0x38b4, v63
	v_fmac_f16_e32 v77, 0x34f2, v61
	v_fmac_f16_e32 v46, 0x34f2, v61
	v_fmac_f16_e32 v6, 0x34f2, v67
	v_fmac_f16_e32 v45, 0xb4f2, v78
	v_fmac_f16_e32 v52, 0x3b9c, v67
	v_fmac_f16_e32 v54, 0x3b9c, v78
	v_fmac_f16_e32 v57, 0x34f2, v58
	v_fmac_f16_e32 v47, 0xba79, v7
	v_fmac_f16_e32 v53, 0x38b4, v7
	v_pack_b32_f16 v0, v0, v2
	v_add_f16_e32 v2, v73, v5
	v_add_f16_e32 v56, v62, v51
	v_pack_b32_f16 v1, v4, v1
	v_add_f16_e32 v4, v77, v6
	v_add_f16_e32 v7, v46, v45
	;; [unrolled: 1-line block ×6, first 2 shown]
	v_sub_f16_e32 v5, v73, v5
	v_sub_f16_e32 v6, v77, v6
	;; [unrolled: 1-line block ×8, first 2 shown]
	v_pack_b32_f16 v2, v2, v56
	v_pack_b32_f16 v4, v4, v58
	;; [unrolled: 1-line block ×8, first 2 shown]
	ds_write2_b32 v48, v1, v2 offset1:5
	ds_write2_b32 v48, v4, v7 offset0:10 offset1:15
	ds_write2_b32 v48, v53, v0 offset0:20 offset1:25
	ds_write2_b32 v48, v5, v6 offset0:30 offset1:35
	ds_write2_b32 v48, v45, v3 offset0:40 offset1:45
	s_waitcnt lgkmcnt(0)
	s_barrier
	buffer_gl0_inv
	ds_read2_b32 v[0:1], v38 offset1:150
	ds_read2_b32 v[2:3], v29 offset0:44 offset1:194
	ds_read2_b32 v[4:5], v32 offset0:88 offset1:238
	ds_read2_b32 v[6:7], v30 offset0:4 offset1:154
	ds_read2_b32 v[31:32], v31 offset0:48 offset1:198
	s_waitcnt lgkmcnt(0)
	s_barrier
	buffer_gl0_inv
	v_lshrrev_b32_e32 v46, 16, v1
	v_lshrrev_b32_e32 v47, 16, v2
	;; [unrolled: 1-line block ×6, first 2 shown]
	v_mul_f16_sdwa v57, v8, v1 dst_sel:DWORD dst_unused:UNUSED_PAD src0_sel:WORD_1 src1_sel:DWORD
	v_mul_f16_sdwa v58, v9, v2 dst_sel:DWORD dst_unused:UNUSED_PAD src0_sel:WORD_1 src1_sel:DWORD
	;; [unrolled: 1-line block ×5, first 2 shown]
	v_lshrrev_b32_e32 v54, 16, v7
	v_lshrrev_b32_e32 v55, 16, v31
	v_mul_f16_sdwa v62, v13, v6 dst_sel:DWORD dst_unused:UNUSED_PAD src0_sel:WORD_1 src1_sel:DWORD
	v_mul_f16_sdwa v63, v14, v7 dst_sel:DWORD dst_unused:UNUSED_PAD src0_sel:WORD_1 src1_sel:DWORD
	;; [unrolled: 1-line block ×3, first 2 shown]
	v_lshrrev_b32_e32 v56, 16, v32
	v_mul_f16_sdwa v65, v50, v32 dst_sel:DWORD dst_unused:UNUSED_PAD src0_sel:WORD_1 src1_sel:DWORD
	v_mul_f16_sdwa v66, v8, v46 dst_sel:DWORD dst_unused:UNUSED_PAD src0_sel:WORD_1 src1_sel:DWORD
	v_fma_f16 v46, v8, v46, -v57
	v_mul_f16_sdwa v57, v9, v47 dst_sel:DWORD dst_unused:UNUSED_PAD src0_sel:WORD_1 src1_sel:DWORD
	v_fma_f16 v47, v9, v47, -v58
	;; [unrolled: 2-line block ×5, first 2 shown]
	v_mul_f16_sdwa v61, v13, v53 dst_sel:DWORD dst_unused:UNUSED_PAD src0_sel:WORD_1 src1_sel:DWORD
	v_lshrrev_b32_e32 v45, 16, v0
	v_fma_f16 v53, v13, v53, -v62
	v_mul_f16_sdwa v62, v14, v54 dst_sel:DWORD dst_unused:UNUSED_PAD src0_sel:WORD_1 src1_sel:DWORD
	v_fma_f16 v54, v14, v54, -v63
	v_mul_f16_sdwa v63, v15, v55 dst_sel:DWORD dst_unused:UNUSED_PAD src0_sel:WORD_1 src1_sel:DWORD
	;; [unrolled: 2-line block ×3, first 2 shown]
	v_fma_f16 v56, v50, v56, -v65
	v_fmac_f16_e32 v57, v9, v2
	v_fmac_f16_e32 v59, v11, v4
	;; [unrolled: 1-line block ×5, first 2 shown]
	v_add_f16_e32 v3, v45, v47
	v_add_f16_e32 v4, v51, v53
	v_fmac_f16_e32 v62, v14, v7
	v_add_f16_e32 v7, v47, v55
	v_fmac_f16_e32 v66, v8, v1
	v_fmac_f16_e32 v60, v12, v5
	;; [unrolled: 1-line block ×3, first 2 shown]
	v_sub_f16_e32 v5, v47, v51
	v_sub_f16_e32 v6, v55, v53
	;; [unrolled: 1-line block ×5, first 2 shown]
	v_add_f16_e32 v12, v46, v48
	v_add_f16_e32 v13, v52, v54
	v_sub_f16_e32 v14, v48, v52
	v_add_f16_e32 v31, v48, v56
	v_sub_f16_e32 v32, v52, v48
	v_add_f16_e32 v48, v0, v57
	v_add_f16_e32 v50, v59, v61
	v_sub_f16_e32 v2, v51, v53
	v_add_f16_e32 v3, v3, v51
	v_fma_f16 v4, -0.5, v4, v45
	v_sub_f16_e32 v51, v57, v63
	v_sub_f16_e32 v65, v57, v59
	;; [unrolled: 1-line block ×3, first 2 shown]
	v_add_f16_e32 v68, v57, v63
	v_sub_f16_e32 v69, v59, v57
	v_sub_f16_e32 v57, v59, v61
	v_fmac_f16_e32 v45, -0.5, v7
	v_sub_f16_e32 v1, v47, v55
	v_add_f16_e32 v5, v5, v6
	v_add_f16_e32 v6, v8, v9
	;; [unrolled: 1-line block ×4, first 2 shown]
	v_sub_f16_e32 v9, v58, v60
	v_add_f16_e32 v72, v58, v64
	v_sub_f16_e32 v73, v60, v58
	v_fma_f16 v13, -0.5, v13, v46
	v_sub_f16_e32 v58, v58, v64
	v_fmac_f16_e32 v46, -0.5, v31
	v_add_f16_e32 v31, v48, v59
	v_fma_f16 v48, -0.5, v50, v0
	v_sub_f16_e32 v75, v60, v62
	v_add_f16_e32 v3, v3, v53
	v_fmamk_f16 v53, v51, 0x3b9c, v4
	v_fmac_f16_e32 v4, 0xbb9c, v51
	v_add_f16_e32 v50, v65, v67
	v_fmamk_f16 v65, v57, 0xbb9c, v45
	v_fmac_f16_e32 v45, 0x3b9c, v57
	v_sub_f16_e32 v15, v56, v54
	v_sub_f16_e32 v70, v61, v63
	v_fmac_f16_e32 v0, -0.5, v68
	v_fma_f16 v8, -0.5, v8, v66
	v_fmamk_f16 v67, v58, 0x3b9c, v13
	v_add_f16_e32 v31, v31, v61
	v_fmamk_f16 v61, v1, 0xbb9c, v48
	v_fmac_f16_e32 v48, 0x3b9c, v1
	v_sub_f16_e32 v11, v52, v54
	v_sub_f16_e32 v47, v54, v56
	v_fmac_f16_e32 v66, -0.5, v72
	v_fmamk_f16 v68, v75, 0xbb9c, v46
	v_fmac_f16_e32 v46, 0x3b9c, v75
	v_fmac_f16_e32 v53, 0x38b4, v57
	;; [unrolled: 1-line block ×6, first 2 shown]
	v_sub_f16_e32 v71, v64, v62
	v_add_f16_e32 v59, v69, v70
	v_fmamk_f16 v69, v2, 0x3b9c, v0
	v_fmac_f16_e32 v0, 0xbb9c, v2
	v_fmamk_f16 v51, v10, 0xbb9c, v8
	v_fmac_f16_e32 v61, 0xb8b4, v2
	v_fmac_f16_e32 v48, 0x38b4, v2
	v_fmac_f16_e32 v67, 0x38b4, v75
	v_add_f16_e32 v2, v14, v15
	v_sub_f16_e32 v74, v62, v64
	v_add_f16_e32 v7, v7, v60
	v_add_f16_e32 v3, v3, v55
	v_fmac_f16_e32 v8, 0x3b9c, v10
	v_fmamk_f16 v55, v11, 0x3b9c, v66
	v_fmac_f16_e32 v66, 0xbb9c, v11
	v_fmac_f16_e32 v53, 0x34f2, v5
	;; [unrolled: 1-line block ×4, first 2 shown]
	v_add_f16_e32 v5, v32, v47
	v_fmac_f16_e32 v46, 0xb8b4, v58
	v_fmac_f16_e32 v65, 0x34f2, v6
	;; [unrolled: 1-line block ×3, first 2 shown]
	v_add_f16_e32 v6, v12, v52
	v_fmac_f16_e32 v13, 0xb8b4, v75
	v_add_f16_e32 v9, v9, v71
	v_fmac_f16_e32 v51, 0xb8b4, v11
	v_fmac_f16_e32 v67, 0x34f2, v2
	v_add_f16_e32 v60, v73, v74
	v_add_f16_e32 v7, v7, v62
	v_fmac_f16_e32 v8, 0x38b4, v11
	v_fmac_f16_e32 v55, 0xb8b4, v10
	;; [unrolled: 1-line block ×5, first 2 shown]
	v_add_f16_e32 v5, v6, v54
	v_fmac_f16_e32 v13, 0x34f2, v2
	v_fmac_f16_e32 v51, 0x34f2, v9
	v_mul_f16_e32 v6, 0xb8b4, v67
	v_mul_f16_e32 v15, 0x3a79, v67
	v_fmac_f16_e32 v69, 0xb8b4, v1
	v_fmac_f16_e32 v0, 0x38b4, v1
	v_add_f16_e32 v1, v7, v64
	v_fmac_f16_e32 v8, 0x34f2, v9
	v_fmac_f16_e32 v55, 0x34f2, v60
	;; [unrolled: 1-line block ×3, first 2 shown]
	v_mul_f16_e32 v7, 0xbb9c, v68
	v_mul_f16_e32 v9, 0xbb9c, v46
	;; [unrolled: 1-line block ×4, first 2 shown]
	v_add_f16_e32 v2, v5, v56
	v_mul_f16_e32 v5, 0xb8b4, v13
	v_mul_f16_e32 v13, 0xba79, v13
	v_add_f16_e32 v31, v31, v63
	v_fmac_f16_e32 v61, 0x34f2, v50
	v_fmac_f16_e32 v6, 0x3a79, v51
	v_fmac_f16_e32 v15, 0x38b4, v51
	v_fmac_f16_e32 v69, 0x34f2, v59
	v_fmac_f16_e32 v0, 0x34f2, v59
	v_fmac_f16_e32 v7, 0x34f2, v55
	v_fmac_f16_e32 v9, 0xb4f2, v66
	v_fmac_f16_e32 v32, 0x3b9c, v55
	v_fmac_f16_e32 v46, 0x3b9c, v66
	v_fmac_f16_e32 v48, 0x34f2, v50
	v_fmac_f16_e32 v5, 0xba79, v8
	v_fmac_f16_e32 v13, 0x38b4, v8
	v_add_f16_e32 v10, v31, v1
	v_add_f16_e32 v11, v61, v6
	;; [unrolled: 1-line block ×10, first 2 shown]
	v_sub_f16_e32 v1, v31, v1
	v_sub_f16_e32 v2, v3, v2
	;; [unrolled: 1-line block ×10, first 2 shown]
	v_pack_b32_f16 v4, v10, v50
	v_pack_b32_f16 v10, v11, v51
	;; [unrolled: 1-line block ×8, first 2 shown]
	v_add_nc_u32_e32 v5, 0x400, v49
	v_pack_b32_f16 v0, v0, v15
	v_pack_b32_f16 v6, v8, v9
	ds_write2_b32 v49, v4, v10 offset1:50
	ds_write2_b32 v49, v11, v12 offset0:100 offset1:150
	ds_write2_b32 v49, v13, v1 offset0:200 offset1:250
	;; [unrolled: 1-line block ×4, first 2 shown]
	v_add_nc_u32_e32 v10, 0xa00, v38
	s_waitcnt lgkmcnt(0)
	s_barrier
	buffer_gl0_inv
	ds_read2_b32 v[2:3], v38 offset1:150
	ds_read2_b32 v[0:1], v29 offset0:44 offset1:244
	ds_read2_b32 v[6:7], v30 offset0:104 offset1:254
	;; [unrolled: 1-line block ×3, first 2 shown]
	ds_read_b32 v11, v38 offset:5200
	s_and_saveexec_b32 s0, vcc_lo
	s_cbranch_execz .LBB0_7
; %bb.6:
	ds_read_b32 v8, v38 offset:1800
	ds_read_b32 v25, v38 offset:3800
	;; [unrolled: 1-line block ×3, first 2 shown]
	s_waitcnt lgkmcnt(2)
	v_lshrrev_b32_e32 v9, 16, v8
	s_waitcnt lgkmcnt(1)
	v_lshrrev_b32_e32 v28, 16, v25
	;; [unrolled: 2-line block ×3, first 2 shown]
.LBB0_7:
	s_or_b32 exec_lo, exec_lo, s0
	s_waitcnt lgkmcnt(3)
	v_lshrrev_b32_e32 v13, 16, v1
	s_waitcnt lgkmcnt(2)
	v_lshrrev_b32_e32 v14, 16, v6
	;; [unrolled: 2-line block ×3, first 2 shown]
	v_mul_f16_sdwa v46, v23, v1 dst_sel:DWORD dst_unused:UNUSED_PAD src0_sel:WORD_1 src1_sel:DWORD
	v_lshrrev_b32_e32 v30, 16, v7
	v_mul_f16_sdwa v32, v23, v13 dst_sel:DWORD dst_unused:UNUSED_PAD src0_sel:WORD_1 src1_sel:DWORD
	v_mul_f16_sdwa v48, v24, v14 dst_sel:DWORD dst_unused:UNUSED_PAD src0_sel:WORD_1 src1_sel:DWORD
	v_lshrrev_b32_e32 v45, 16, v5
	v_fma_f16 v13, v23, v13, -v46
	s_waitcnt lgkmcnt(0)
	v_lshrrev_b32_e32 v47, 16, v11
	v_fmac_f16_e32 v32, v23, v1
	v_mul_f16_sdwa v1, v24, v6 dst_sel:DWORD dst_unused:UNUSED_PAD src0_sel:WORD_1 src1_sel:DWORD
	v_mul_f16_sdwa v23, v21, v29 dst_sel:DWORD dst_unused:UNUSED_PAD src0_sel:WORD_1 src1_sel:DWORD
	v_fmac_f16_e32 v48, v24, v6
	v_mul_f16_sdwa v6, v21, v4 dst_sel:DWORD dst_unused:UNUSED_PAD src0_sel:WORD_1 src1_sel:DWORD
	v_lshrrev_b32_e32 v12, 16, v2
	v_fma_f16 v1, v24, v14, -v1
	v_mul_f16_sdwa v14, v22, v30 dst_sel:DWORD dst_unused:UNUSED_PAD src0_sel:WORD_1 src1_sel:DWORD
	v_fmac_f16_e32 v23, v21, v4
	v_mul_f16_sdwa v4, v22, v7 dst_sel:DWORD dst_unused:UNUSED_PAD src0_sel:WORD_1 src1_sel:DWORD
	v_fma_f16 v6, v21, v29, -v6
	v_mul_f16_sdwa v21, v19, v45 dst_sel:DWORD dst_unused:UNUSED_PAD src0_sel:WORD_1 src1_sel:DWORD
	v_fmac_f16_e32 v14, v22, v7
	v_mul_f16_sdwa v7, v19, v5 dst_sel:DWORD dst_unused:UNUSED_PAD src0_sel:WORD_1 src1_sel:DWORD
	;; [unrolled: 4-line block ×3, first 2 shown]
	v_fma_f16 v7, v19, v45, -v7
	v_add_f16_e32 v19, v32, v48
	v_fmac_f16_e32 v22, v20, v11
	v_add_f16_e32 v11, v2, v32
	v_fma_f16 v5, v20, v47, -v5
	v_add_f16_e32 v20, v13, v1
	v_fma_f16 v2, -0.5, v19, v2
	v_sub_f16_e32 v19, v13, v1
	v_add_f16_e32 v13, v12, v13
	v_lshrrev_b32_e32 v15, 16, v3
	v_fmac_f16_e32 v12, -0.5, v20
	v_sub_f16_e32 v20, v32, v48
	v_fmamk_f16 v24, v19, 0xbaee, v2
	v_add_f16_e32 v1, v13, v1
	v_add_f16_e32 v13, v23, v14
	v_fmac_f16_e32 v2, 0x3aee, v19
	v_fmamk_f16 v19, v20, 0x3aee, v12
	v_add_f16_e32 v29, v3, v23
	v_fmac_f16_e32 v12, 0xbaee, v20
	v_add_f16_e32 v20, v6, v4
	v_fmac_f16_e32 v3, -0.5, v13
	v_sub_f16_e32 v13, v6, v4
	v_add_f16_e32 v6, v15, v6
	v_add_f16_e32 v29, v29, v14
	v_fmac_f16_e32 v15, -0.5, v20
	v_sub_f16_e32 v14, v23, v14
	v_lshrrev_b32_e32 v31, 16, v0
	v_add_f16_e32 v4, v6, v4
	v_add_f16_e32 v6, v21, v22
	v_fmamk_f16 v20, v13, 0xbaee, v3
	v_fmac_f16_e32 v3, 0x3aee, v13
	v_fmamk_f16 v13, v14, 0x3aee, v15
	v_fmac_f16_e32 v15, 0xbaee, v14
	v_add_f16_e32 v14, v7, v5
	v_add_f16_e32 v23, v0, v21
	v_fmac_f16_e32 v0, -0.5, v6
	v_sub_f16_e32 v6, v7, v5
	v_add_f16_e32 v7, v31, v7
	v_fmac_f16_e32 v31, -0.5, v14
	v_sub_f16_e32 v14, v21, v22
	v_add_f16_e32 v11, v11, v48
	v_add_f16_e32 v23, v23, v22
	;; [unrolled: 1-line block ×3, first 2 shown]
	v_fmamk_f16 v21, v6, 0xbaee, v0
	v_fmac_f16_e32 v0, 0x3aee, v6
	v_pack_b32_f16 v6, v24, v19
	v_fmamk_f16 v7, v14, 0x3aee, v31
	v_fmac_f16_e32 v31, 0xbaee, v14
	v_pack_b32_f16 v2, v2, v12
	v_pack_b32_f16 v1, v11, v1
	;; [unrolled: 1-line block ×4, first 2 shown]
	ds_write_b32 v38, v6 offset:2000
	v_pack_b32_f16 v6, v20, v13
	v_pack_b32_f16 v7, v21, v7
	;; [unrolled: 1-line block ×4, first 2 shown]
	v_add_nc_u32_e32 v11, 0x1100, v38
	ds_write_b32 v38, v2 offset:4000
	ds_write2_b32 v38, v1, v4 offset1:150
	ds_write_b32 v38, v5 offset:1200
	ds_write2_b32 v10, v6, v7 offset0:10 offset1:160
	ds_write2_b32 v11, v3, v0 offset0:62 offset1:212
	s_and_saveexec_b32 s0, vcc_lo
	s_cbranch_execz .LBB0_9
; %bb.8:
	v_mul_f16_sdwa v0, v17, v25 dst_sel:DWORD dst_unused:UNUSED_PAD src0_sel:WORD_1 src1_sel:DWORD
	v_mul_f16_sdwa v1, v18, v26 dst_sel:DWORD dst_unused:UNUSED_PAD src0_sel:WORD_1 src1_sel:DWORD
	;; [unrolled: 1-line block ×4, first 2 shown]
	v_fma_f16 v0, v17, v28, -v0
	v_fma_f16 v1, v18, v27, -v1
	v_fmac_f16_e32 v2, v17, v25
	v_fmac_f16_e32 v3, v18, v26
	v_add_f16_e32 v7, v9, v0
	v_add_f16_e32 v4, v0, v1
	v_sub_f16_e32 v0, v0, v1
	v_add_f16_e32 v6, v2, v3
	v_sub_f16_e32 v5, v2, v3
	v_add_f16_e32 v2, v8, v2
	v_fma_f16 v4, -0.5, v4, v9
	v_add_f16_e32 v1, v7, v1
	v_fma_f16 v6, -0.5, v6, v8
	v_add_f16_e32 v2, v2, v3
	v_fmamk_f16 v3, v5, 0xbaee, v4
	v_fmac_f16_e32 v4, 0x3aee, v5
	v_fmamk_f16 v5, v0, 0x3aee, v6
	v_fmac_f16_e32 v6, 0xbaee, v0
	v_pack_b32_f16 v0, v2, v1
	v_pack_b32_f16 v2, v5, v3
	;; [unrolled: 1-line block ×3, first 2 shown]
	ds_write_b32 v38, v0 offset:1800
	ds_write_b32 v38, v1 offset:3800
	;; [unrolled: 1-line block ×3, first 2 shown]
.LBB0_9:
	s_or_b32 exec_lo, exec_lo, s0
	s_waitcnt lgkmcnt(0)
	s_barrier
	buffer_gl0_inv
	ds_read2_b32 v[5:6], v38 offset1:150
	v_add_nc_u32_e32 v0, 0x400, v38
	s_mov_b32 s4, 0xc3ece2a5
	s_mov_b32 s5, 0x3f45d867
	ds_read2_b32 v[2:3], v0 offset0:44 offset1:194
	s_waitcnt lgkmcnt(1)
	v_lshrrev_b32_e32 v0, 16, v5
	v_mul_f16_sdwa v1, v44, v5 dst_sel:DWORD dst_unused:UNUSED_PAD src0_sel:WORD_1 src1_sel:DWORD
	v_mul_f16_sdwa v4, v44, v0 dst_sel:DWORD dst_unused:UNUSED_PAD src0_sel:WORD_1 src1_sel:DWORD
	v_fma_f16 v0, v44, v0, -v1
	s_waitcnt lgkmcnt(0)
	v_lshrrev_b32_e32 v11, 16, v2
	v_mul_f16_sdwa v7, v43, v2 dst_sel:DWORD dst_unused:UNUSED_PAD src0_sel:WORD_1 src1_sel:DWORD
	v_add_nc_u32_e32 v1, 0x800, v38
	v_fmac_f16_e32 v4, v44, v5
	v_cvt_f32_f16_e32 v5, v0
	v_mul_f16_sdwa v15, v43, v11 dst_sel:DWORD dst_unused:UNUSED_PAD src0_sel:WORD_1 src1_sel:DWORD
	v_fma_f16 v12, v43, v11, -v7
	ds_read2_b32 v[0:1], v1 offset0:88 offset1:238
	v_cvt_f32_f16_e32 v9, v4
	v_cvt_f64_f32_e32 v[4:5], v5
	v_mad_u64_u32 v[7:8], null, s10, v16, 0
	v_cvt_f32_f16_e32 v13, v12
	v_cvt_f64_f32_e32 v[9:10], v9
	v_mad_u64_u32 v[11:12], null, s8, v42, 0
	v_fmac_f16_e32 v15, v43, v2
	v_cvt_f64_f32_e32 v[13:14], v13
	v_mov_b32_e32 v2, v8
	v_cvt_f32_f16_e32 v17, v15
	v_mov_b32_e32 v8, v12
	v_mad_u64_u32 v[15:16], null, s11, v16, v[2:3]
	v_cvt_f64_f32_e32 v[16:17], v17
	s_waitcnt lgkmcnt(0)
	v_lshrrev_b32_e32 v2, 16, v0
	v_mul_f64 v[4:5], v[4:5], s[4:5]
	v_mad_u64_u32 v[18:19], null, s9, v42, v[8:9]
	v_mul_f64 v[9:10], v[9:10], s[4:5]
	v_mul_f16_sdwa v19, v41, v2 dst_sel:DWORD dst_unused:UNUSED_PAD src0_sel:WORD_1 src1_sel:DWORD
	v_mov_b32_e32 v8, v15
	v_mul_f64 v[13:14], v[13:14], s[4:5]
	v_fmac_f16_e32 v19, v41, v0
	v_lshlrev_b64 v[7:8], 2, v[7:8]
	v_mov_b32_e32 v12, v18
	v_mul_f16_sdwa v0, v41, v0 dst_sel:DWORD dst_unused:UNUSED_PAD src0_sel:WORD_1 src1_sel:DWORD
	v_cvt_f32_f16_e32 v15, v19
	v_add_co_u32 v18, vcc_lo, s2, v7
	v_add_co_ci_u32_e32 v19, vcc_lo, s3, v8, vcc_lo
	v_and_or_b32 v4, 0x1ff, v5, v4
	v_cvt_f64_f32_e32 v[7:8], v15
	v_mul_f64 v[15:16], v[16:17], s[4:5]
	v_lshrrev_b32_e32 v17, 8, v5
	v_bfe_u32 v20, v5, 20, 11
	v_and_or_b32 v9, 0x1ff, v10, v9
	v_cmp_ne_u32_e32 vcc_lo, 0, v4
	v_lshrrev_b32_e32 v21, 8, v10
	v_bfe_u32 v22, v10, 20, 11
	v_and_or_b32 v13, 0x1ff, v14, v13
	v_sub_nc_u32_e32 v23, 0x3f1, v20
	v_cndmask_b32_e64 v4, 0, 1, vcc_lo
	v_cmp_ne_u32_e32 vcc_lo, 0, v9
	v_sub_nc_u32_e32 v26, 0x3f1, v22
	v_add_nc_u32_e32 v20, 0xfffffc10, v20
	v_bfe_u32 v25, v14, 20, 11
	v_and_or_b32 v4, 0xffe, v17, v4
	v_cndmask_b32_e64 v9, 0, 1, vcc_lo
	v_cmp_ne_u32_e32 vcc_lo, 0, v13
	v_lshrrev_b32_e32 v24, 8, v14
	v_med3_i32 v17, v23, 0, 13
	v_sub_nc_u32_e32 v28, 0x3f1, v25
	v_and_or_b32 v9, 0xffe, v21, v9
	v_cndmask_b32_e64 v13, 0, 1, vcc_lo
	v_and_or_b32 v15, 0x1ff, v16, v15
	v_med3_i32 v21, v26, 0, 13
	v_cmp_ne_u32_e32 vcc_lo, 0, v4
	v_or_b32_e32 v30, 0x1000, v9
	v_or_b32_e32 v26, 0x1000, v4
	v_lshl_or_b32 v29, v20, 12, v4
	v_add_nc_u32_e32 v22, 0xfffffc10, v22
	v_cndmask_b32_e64 v4, 0, 1, vcc_lo
	v_cmp_ne_u32_e32 vcc_lo, 0, v15
	v_lshrrev_b32_e32 v32, v21, v30
	v_and_or_b32 v13, 0xffe, v24, v13
	v_med3_i32 v24, v28, 0, 13
	v_lshrrev_b32_e32 v28, v17, v26
	v_cndmask_b32_e64 v15, 0, 1, vcc_lo
	v_lshlrev_b32_e32 v21, v21, v32
	v_cmp_ne_u32_e32 vcc_lo, 0, v9
	v_lshrrev_b32_e32 v23, 8, v16
	v_bfe_u32 v27, v16, 20, 11
	v_lshl_or_b32 v42, v22, 12, v9
	v_lshlrev_b32_e32 v17, v17, v28
	v_cndmask_b32_e64 v9, 0, 1, vcc_lo
	v_cmp_ne_u32_e32 vcc_lo, v21, v30
	v_sub_nc_u32_e32 v31, 0x3f1, v27
	v_and_or_b32 v15, 0xffe, v23, v15
	v_add_nc_u32_e32 v27, 0xfffffc10, v27
	v_lshl_or_b32 v9, v9, 9, 0x7c00
	v_cndmask_b32_e64 v21, 0, 1, vcc_lo
	v_cmp_ne_u32_e32 vcc_lo, v17, v26
	v_med3_i32 v23, v31, 0, 13
	v_or_b32_e32 v26, 0x1000, v15
	v_lshl_or_b32 v31, v27, 12, v15
	v_or_b32_e32 v21, v32, v21
	v_cndmask_b32_e64 v17, 0, 1, vcc_lo
	v_cmp_gt_i32_e32 vcc_lo, 1, v22
	v_lshrrev_b32_e32 v10, 16, v10
	v_lshl_or_b32 v4, v4, 9, 0x7c00
	v_or_b32_e32 v30, 0x1000, v13
	v_or_b32_e32 v17, v28, v17
	v_lshrrev_b32_e32 v28, v23, v26
	v_cndmask_b32_e32 v21, v42, v21, vcc_lo
	v_cmp_gt_i32_e32 vcc_lo, 1, v20
	v_lshlrev_b64 v[11:12], 2, v[11:12]
	v_lshrrev_b32_e32 v5, 16, v5
	v_lshlrev_b32_e32 v23, v23, v28
	v_mul_f64 v[7:8], v[7:8], s[4:5]
	v_cndmask_b32_e32 v17, v29, v17, vcc_lo
	v_and_b32_e32 v29, 7, v21
	v_lshrrev_b32_e32 v21, 2, v21
	v_cmp_ne_u32_e32 vcc_lo, v23, v26
	v_fma_f16 v0, v41, v2, -v0
	v_and_b32_e32 v32, 7, v17
	v_cmp_eq_u32_e64 s0, 3, v29
	v_lshrrev_b32_e32 v17, 2, v17
	v_cndmask_b32_e64 v23, 0, 1, vcc_lo
	v_cmp_lt_i32_e32 vcc_lo, 5, v29
	v_cmp_lt_i32_e64 s1, 5, v32
	v_cmp_eq_u32_e64 s2, 3, v32
	v_cvt_f32_f16_e32 v0, v0
	v_or_b32_e32 v23, v28, v23
	s_or_b32 vcc_lo, s0, vcc_lo
	v_lshrrev_b32_e32 v16, 16, v16
	v_add_co_ci_u32_e32 v21, vcc_lo, 0, v21, vcc_lo
	s_or_b32 vcc_lo, s2, s1
	s_mul_hi_u32 s2, s8, 0x4b0
	v_add_co_ci_u32_e32 v17, vcc_lo, 0, v17, vcc_lo
	v_cmp_gt_i32_e32 vcc_lo, 31, v22
	s_mul_i32 s3, s8, 0x4b0
	v_cndmask_b32_e32 v21, 0x7c00, v21, vcc_lo
	v_cmp_gt_i32_e32 vcc_lo, 31, v20
	v_cndmask_b32_e32 v17, 0x7c00, v17, vcc_lo
	v_cmp_eq_u32_e32 vcc_lo, 0x40f, v22
	v_cndmask_b32_e32 v9, v21, v9, vcc_lo
	v_cmp_gt_i32_e32 vcc_lo, 1, v27
	v_and_or_b32 v9, 0x8000, v10, v9
	v_cndmask_b32_e32 v21, v31, v23, vcc_lo
	v_cmp_eq_u32_e32 vcc_lo, 0x40f, v20
	v_and_b32_e32 v20, 7, v21
	v_cndmask_b32_e32 v4, v17, v4, vcc_lo
	v_lshrrev_b32_e32 v17, v24, v30
	v_lshrrev_b32_e32 v2, 2, v21
	v_bfe_u32 v21, v8, 20, 11
	v_cmp_eq_u32_e64 s0, 3, v20
	v_and_or_b32 v4, 0x8000, v5, v4
	v_and_b32_e32 v5, 0xffff, v9
	v_add_co_u32 v9, vcc_lo, v18, v11
	v_lshlrev_b32_e32 v11, v24, v17
	v_add_co_ci_u32_e32 v10, vcc_lo, v19, v12, vcc_lo
	v_cmp_lt_i32_e32 vcc_lo, 5, v20
	v_lshl_or_b32 v18, v4, 16, v5
	v_cmp_ne_u32_e64 s1, v11, v30
	v_add_nc_u32_e32 v19, 0xfffffc10, v25
	v_cvt_f64_f32_e32 v[11:12], v0
	s_or_b32 vcc_lo, s0, vcc_lo
	v_lshrrev_b32_e32 v20, 8, v8
	v_add_co_ci_u32_e32 v2, vcc_lo, 0, v2, vcc_lo
	v_cndmask_b32_e64 v4, 0, 1, s1
	v_cmp_ne_u32_e32 vcc_lo, 0, v15
	v_lshl_or_b32 v5, v19, 12, v13
	global_store_dword v[9:10], v18, off
	s_mul_i32 s1, s9, 0x4b0
	v_or_b32_e32 v4, v17, v4
	v_cndmask_b32_e64 v0, 0, 1, vcc_lo
	v_cmp_gt_i32_e32 vcc_lo, 1, v19
	s_add_i32 s2, s2, s1
	v_lshl_or_b32 v0, v0, 9, 0x7c00
	v_cndmask_b32_e32 v15, v5, v4, vcc_lo
	v_and_or_b32 v4, 0x1ff, v8, v7
	v_cmp_gt_i32_e32 vcc_lo, 31, v27
	v_and_b32_e32 v7, 7, v15
	v_mul_f64 v[11:12], v[11:12], s[4:5]
	v_cndmask_b32_e32 v2, 0x7c00, v2, vcc_lo
	v_cmp_ne_u32_e32 vcc_lo, 0, v4
	v_add_nc_u32_e32 v4, 0xe00, v38
	v_cmp_eq_u32_e64 s0, 3, v7
	v_cndmask_b32_e64 v17, 0, 1, vcc_lo
	v_cmp_eq_u32_e32 vcc_lo, 0x40f, v27
	ds_read2_b32 v[4:5], v4 offset0:4 offset1:154
	v_cndmask_b32_e32 v0, v2, v0, vcc_lo
	v_cmp_lt_i32_e32 vcc_lo, 5, v7
	v_lshrrev_b32_e32 v7, 2, v15
	v_and_or_b32 v2, 0xffe, v20, v17
	v_sub_nc_u32_e32 v17, 0x3f1, v21
	v_and_or_b32 v0, 0x8000, v16, v0
	s_or_b32 vcc_lo, s0, vcc_lo
	v_add_co_ci_u32_e32 v7, vcc_lo, 0, v7, vcc_lo
	v_or_b32_e32 v15, 0x1000, v2
	v_med3_i32 v17, v17, 0, 13
	v_cmp_ne_u32_e32 vcc_lo, 0, v13
	v_and_or_b32 v11, 0x1ff, v12, v11
	v_and_b32_e32 v0, 0xffff, v0
	v_lshrrev_b32_e32 v20, v17, v15
	v_cndmask_b32_e64 v13, 0, 1, vcc_lo
	v_cmp_gt_i32_e32 vcc_lo, 31, v19
	s_waitcnt lgkmcnt(0)
	v_lshrrev_b32_e32 v16, 16, v4
	v_lshlrev_b32_e32 v17, v17, v20
	v_lshl_or_b32 v13, v13, 9, 0x7c00
	v_cndmask_b32_e32 v7, 0x7c00, v7, vcc_lo
	v_cmp_eq_u32_e32 vcc_lo, 0x40f, v19
	v_lshrrev_b32_e32 v19, 16, v14
	v_cndmask_b32_e32 v7, v7, v13, vcc_lo
	v_cmp_ne_u32_e32 vcc_lo, v17, v15
	v_mul_f16_sdwa v15, v40, v16 dst_sel:DWORD dst_unused:UNUSED_PAD src0_sel:WORD_1 src1_sel:DWORD
	v_add_nc_u32_e32 v17, 0xfffffc10, v21
	v_bfe_u32 v21, v12, 20, 11
	v_and_or_b32 v7, 0x8000, v19, v7
	v_cndmask_b32_e64 v13, 0, 1, vcc_lo
	v_fmac_f16_e32 v15, v40, v4
	v_cmp_ne_u32_e32 vcc_lo, 0, v11
	v_lshl_or_b32 v14, v17, 12, v2
	v_mul_f16_sdwa v4, v40, v4 dst_sel:DWORD dst_unused:UNUSED_PAD src0_sel:WORD_1 src1_sel:DWORD
	v_or_b32_e32 v13, v20, v13
	v_cvt_f32_f16_e32 v15, v15
	v_cndmask_b32_e64 v11, 0, 1, vcc_lo
	v_cmp_gt_i32_e32 vcc_lo, 1, v17
	v_lshrrev_b32_e32 v20, 8, v12
	v_lshl_or_b32 v0, v7, 16, v0
	v_fma_f16 v4, v40, v16, -v4
	v_lshrrev_b32_e32 v12, 16, v12
	v_cndmask_b32_e32 v22, v14, v13, vcc_lo
	v_cvt_f64_f32_e32 v[13:14], v15
	v_and_or_b32 v11, 0xffe, v20, v11
	v_sub_nc_u32_e32 v20, 0x3f1, v21
	v_cvt_f32_f16_e32 v4, v4
	v_and_b32_e32 v15, 7, v22
	v_or_b32_e32 v19, 0x1000, v11
	v_med3_i32 v20, v20, 0, 13
	v_cmp_lt_i32_e32 vcc_lo, 5, v15
	v_cmp_eq_u32_e64 s0, 3, v15
	v_lshrrev_b32_e32 v15, 2, v22
	v_lshrrev_b32_e32 v7, v20, v19
	s_or_b32 vcc_lo, s0, vcc_lo
	v_lshlrev_b32_e32 v16, v20, v7
	v_add_co_ci_u32_e32 v18, vcc_lo, 0, v15, vcc_lo
	v_add_nc_u32_e32 v20, 0xfffffc10, v21
	v_cmp_ne_u32_e32 vcc_lo, v16, v19
	v_mul_f64 v[13:14], v[13:14], s[4:5]
	v_cvt_f64_f32_e32 v[15:16], v4
	v_cndmask_b32_e64 v19, 0, 1, vcc_lo
	v_cmp_ne_u32_e32 vcc_lo, 0, v2
	v_or_b32_e32 v4, v7, v19
	v_cndmask_b32_e64 v2, 0, 1, vcc_lo
	v_cmp_gt_i32_e32 vcc_lo, 31, v17
	v_lshl_or_b32 v7, v20, 12, v11
	v_add_nc_u32_e32 v19, 0x1200, v38
	v_lshl_or_b32 v2, v2, 9, 0x7c00
	v_cndmask_b32_e32 v18, 0x7c00, v18, vcc_lo
	v_cmp_gt_i32_e32 vcc_lo, 1, v20
	v_cndmask_b32_e32 v4, v7, v4, vcc_lo
	v_cmp_eq_u32_e32 vcc_lo, 0x40f, v17
	v_lshrrev_b32_e32 v17, 16, v8
	ds_read2_b32 v[7:8], v19 offset0:48 offset1:198
	v_and_or_b32 v13, 0x1ff, v14, v13
	v_mul_f64 v[15:16], v[15:16], s[4:5]
	v_cndmask_b32_e32 v2, v18, v2, vcc_lo
	v_and_b32_e32 v18, 7, v4
	v_lshrrev_b32_e32 v4, 2, v4
	v_cmp_ne_u32_e64 s1, 0, v13
	v_bfe_u32 v19, v14, 20, 11
	v_and_or_b32 v2, 0x8000, v17, v2
	v_cmp_lt_i32_e32 vcc_lo, 5, v18
	v_cmp_eq_u32_e64 s0, 3, v18
	v_cndmask_b32_e64 v13, 0, 1, s1
	v_lshrrev_b32_e32 v17, 8, v14
	v_and_b32_e32 v2, 0xffff, v2
	s_or_b32 vcc_lo, s0, vcc_lo
	v_add_co_ci_u32_e32 v4, vcc_lo, 0, v4, vcc_lo
	v_and_or_b32 v13, 0xffe, v17, v13
	v_sub_nc_u32_e32 v17, 0x3f1, v19
	v_cmp_ne_u32_e32 vcc_lo, 0, v11
	s_waitcnt lgkmcnt(0)
	v_lshrrev_b32_e32 v21, 16, v7
	v_or_b32_e32 v22, 0x1000, v13
	v_med3_i32 v17, v17, 0, 13
	v_cndmask_b32_e64 v11, 0, 1, vcc_lo
	v_cmp_gt_i32_e32 vcc_lo, 31, v20
	v_mul_f16_sdwa v18, v39, v21 dst_sel:DWORD dst_unused:UNUSED_PAD src0_sel:WORD_1 src1_sel:DWORD
	v_and_or_b32 v15, 0x1ff, v16, v15
	v_lshrrev_b32_e32 v23, v17, v22
	v_lshl_or_b32 v11, v11, 9, 0x7c00
	v_cndmask_b32_e32 v4, 0x7c00, v4, vcc_lo
	v_cmp_eq_u32_e32 vcc_lo, 0x40f, v20
	v_fmac_f16_e32 v18, v39, v7
	v_lshrrev_b32_e32 v20, 8, v16
	v_bfe_u32 v24, v16, 20, 11
	v_mul_f16_sdwa v7, v39, v7 dst_sel:DWORD dst_unused:UNUSED_PAD src0_sel:WORD_1 src1_sel:DWORD
	v_cndmask_b32_e32 v4, v4, v11, vcc_lo
	v_lshlrev_b32_e32 v11, v17, v23
	v_cmp_ne_u32_e32 vcc_lo, 0, v15
	v_cvt_f32_f16_e32 v17, v18
	v_fma_f16 v7, v39, v21, -v7
	v_and_or_b32 v4, 0x8000, v12, v4
	v_add_nc_u32_e32 v21, 0xfffffc10, v24
	v_cndmask_b32_e64 v15, 0, 1, vcc_lo
	v_cmp_ne_u32_e32 vcc_lo, v11, v22
	v_cvt_f64_f32_e32 v[17:18], v17
	v_add_nc_u32_e32 v22, 0xfffffc10, v19
	v_sub_nc_u32_e32 v19, 0x3f1, v24
	v_and_or_b32 v15, 0xffe, v20, v15
	v_cndmask_b32_e64 v11, 0, 1, vcc_lo
	v_lshl_or_b32 v2, v4, 16, v2
	v_lshl_or_b32 v20, v22, 12, v13
	v_med3_i32 v19, v19, 0, 13
	v_cmp_gt_i32_e32 vcc_lo, 1, v22
	v_or_b32_e32 v11, v23, v11
	v_or_b32_e32 v23, 0x1000, v15
	v_cvt_f32_f16_e32 v7, v7
	v_lshl_or_b32 v24, v21, 12, v15
	v_cndmask_b32_e32 v20, v20, v11, vcc_lo
	v_lshrrev_b32_e32 v25, v19, v23
	v_add_co_u32 v9, vcc_lo, v9, s3
	v_add_co_ci_u32_e32 v10, vcc_lo, s2, v10, vcc_lo
	v_lshlrev_b32_e32 v19, v19, v25
	v_and_b32_e32 v4, 7, v20
	v_mul_f64 v[11:12], v[17:18], s[4:5]
	v_add_co_u32 v17, vcc_lo, v9, s3
	v_cmp_ne_u32_e64 s0, v19, v23
	v_add_co_ci_u32_e32 v18, vcc_lo, s2, v10, vcc_lo
	v_cmp_lt_i32_e32 vcc_lo, 5, v4
	global_store_dword v[9:10], v0, off
	global_store_dword v[17:18], v2, off
	v_cndmask_b32_e64 v19, 0, 1, s0
	v_cmp_eq_u32_e64 s0, 3, v4
	v_lshrrev_b32_e32 v4, 2, v20
	v_or_b32_e32 v23, v25, v19
	s_or_b32 vcc_lo, s0, vcc_lo
	v_cvt_f64_f32_e32 v[19:20], v7
	v_add_co_ci_u32_e32 v4, vcc_lo, 0, v4, vcc_lo
	v_cmp_ne_u32_e32 vcc_lo, 0, v13
	v_and_or_b32 v11, 0x1ff, v12, v11
	v_lshrrev_b32_e32 v13, 8, v12
	v_cndmask_b32_e64 v7, 0, 1, vcc_lo
	v_cmp_gt_i32_e32 vcc_lo, 1, v21
	v_bfe_u32 v25, v12, 20, 11
	v_lshl_or_b32 v7, v7, 9, 0x7c00
	v_cndmask_b32_e32 v23, v24, v23, vcc_lo
	v_cmp_gt_i32_e32 vcc_lo, 31, v22
	v_and_b32_e32 v24, 7, v23
	v_cndmask_b32_e32 v4, 0x7c00, v4, vcc_lo
	v_cmp_ne_u32_e32 vcc_lo, 0, v11
	v_cmp_eq_u32_e64 s0, 3, v24
	v_cndmask_b32_e64 v11, 0, 1, vcc_lo
	v_cmp_eq_u32_e32 vcc_lo, 0x40f, v22
	v_sub_nc_u32_e32 v22, 0x3f1, v25
	v_and_or_b32 v11, 0xffe, v13, v11
	v_cndmask_b32_e32 v4, v4, v7, vcc_lo
	v_cmp_lt_i32_e32 vcc_lo, 5, v24
	v_lshrrev_b32_e32 v7, 16, v14
	v_mul_f64 v[13:14], v[19:20], s[4:5]
	v_lshrrev_b32_e32 v20, 2, v23
	v_or_b32_e32 v23, 0x1000, v11
	s_or_b32 vcc_lo, s0, vcc_lo
	v_med3_i32 v22, v22, 0, 13
	v_lshrrev_b32_e32 v19, 16, v6
	v_add_co_ci_u32_e32 v20, vcc_lo, 0, v20, vcc_lo
	v_cmp_ne_u32_e32 vcc_lo, 0, v15
	v_lshrrev_b32_e32 v26, v22, v23
	v_mul_f16_sdwa v24, v37, v19 dst_sel:DWORD dst_unused:UNUSED_PAD src0_sel:WORD_1 src1_sel:DWORD
	v_and_or_b32 v4, 0x8000, v7, v4
	v_cndmask_b32_e64 v15, 0, 1, vcc_lo
	v_cmp_gt_i32_e32 vcc_lo, 31, v21
	v_lshlrev_b32_e32 v7, v22, v26
	v_fmac_f16_e32 v24, v37, v6
	v_and_b32_e32 v4, 0xffff, v4
	v_lshl_or_b32 v15, v15, 9, 0x7c00
	v_cndmask_b32_e32 v20, 0x7c00, v20, vcc_lo
	v_cmp_eq_u32_e32 vcc_lo, 0x40f, v21
	v_cvt_f32_f16_e32 v22, v24
	v_and_or_b32 v13, 0x1ff, v14, v13
	v_lshrrev_b32_e32 v21, 16, v16
	v_bfe_u32 v24, v14, 20, 11
	v_cndmask_b32_e32 v20, v20, v15, vcc_lo
	v_cmp_ne_u32_e32 vcc_lo, v7, v23
	v_cvt_f64_f32_e32 v[15:16], v22
	v_add_nc_u32_e32 v22, 0xfffffc10, v25
	v_lshrrev_b32_e32 v23, 8, v14
	v_and_or_b32 v20, 0x8000, v21, v20
	v_cndmask_b32_e64 v7, 0, 1, vcc_lo
	v_cmp_ne_u32_e32 vcc_lo, 0, v13
	v_lshl_or_b32 v21, v22, 12, v11
	v_mul_f16_sdwa v6, v37, v6 dst_sel:DWORD dst_unused:UNUSED_PAD src0_sel:WORD_1 src1_sel:DWORD
	v_lshl_or_b32 v0, v20, 16, v4
	v_or_b32_e32 v7, v26, v7
	v_cndmask_b32_e64 v13, 0, 1, vcc_lo
	v_cmp_gt_i32_e32 vcc_lo, 1, v22
	v_fma_f16 v6, v37, v19, -v6
	v_and_or_b32 v13, 0xffe, v23, v13
	v_sub_nc_u32_e32 v23, 0x3f1, v24
	v_cndmask_b32_e32 v7, v21, v7, vcc_lo
	v_cvt_f32_f16_e32 v6, v6
	v_or_b32_e32 v21, 0x1000, v13
	v_med3_i32 v23, v23, 0, 13
	v_and_b32_e32 v2, 7, v7
	v_mul_f64 v[9:10], v[15:16], s[4:5]
	v_add_co_u32 v15, vcc_lo, v17, s3
	v_lshrrev_b32_e32 v4, v23, v21
	v_add_co_ci_u32_e32 v16, vcc_lo, s2, v18, vcc_lo
	v_cmp_lt_i32_e32 vcc_lo, 5, v2
	v_cmp_eq_u32_e64 s0, 3, v2
	v_lshlrev_b32_e32 v17, v23, v4
	v_lshrrev_b32_e32 v2, 2, v7
	global_store_dword v[15:16], v0, off
	s_or_b32 vcc_lo, s0, vcc_lo
	v_cmp_ne_u32_e64 s1, v17, v21
	v_add_co_ci_u32_e32 v2, vcc_lo, 0, v2, vcc_lo
	v_add_nc_u32_e32 v17, 0xfffffc10, v24
	v_cmp_ne_u32_e32 vcc_lo, 0, v11
	v_cndmask_b32_e64 v7, 0, 1, s1
	v_lshl_or_b32 v18, v17, 12, v13
	v_cndmask_b32_e64 v11, 0, 1, vcc_lo
	v_or_b32_e32 v4, v4, v7
	v_cvt_f64_f32_e32 v[6:7], v6
	v_cmp_gt_i32_e32 vcc_lo, 1, v17
	v_and_or_b32 v9, 0x1ff, v10, v9
	v_lshl_or_b32 v11, v11, 9, 0x7c00
	v_lshrrev_b32_e32 v19, 8, v10
	v_bfe_u32 v20, v10, 20, 11
	v_cndmask_b32_e32 v4, v18, v4, vcc_lo
	v_cmp_gt_i32_e32 vcc_lo, 31, v22
	v_lshrrev_b32_e32 v10, 16, v10
	v_and_b32_e32 v18, 7, v4
	v_cndmask_b32_e32 v2, 0x7c00, v2, vcc_lo
	v_cmp_ne_u32_e32 vcc_lo, 0, v9
	v_lshrrev_b32_e32 v4, 2, v4
	v_cmp_eq_u32_e64 s0, 3, v18
	v_cndmask_b32_e64 v9, 0, 1, vcc_lo
	v_cmp_eq_u32_e32 vcc_lo, 0x40f, v22
	v_mul_f64 v[6:7], v[6:7], s[4:5]
	v_and_or_b32 v9, 0xffe, v19, v9
	v_cndmask_b32_e32 v2, v2, v11, vcc_lo
	v_cmp_lt_i32_e32 vcc_lo, 5, v18
	v_lshrrev_b32_e32 v11, 16, v12
	v_sub_nc_u32_e32 v12, 0x3f1, v20
	v_or_b32_e32 v18, 0x1000, v9
	v_lshrrev_b32_e32 v19, 16, v3
	s_or_b32 vcc_lo, s0, vcc_lo
	v_and_or_b32 v2, 0x8000, v11, v2
	v_add_co_ci_u32_e32 v4, vcc_lo, 0, v4, vcc_lo
	v_med3_i32 v12, v12, 0, 13
	v_cmp_ne_u32_e32 vcc_lo, 0, v13
	v_mul_f16_sdwa v22, v36, v19 dst_sel:DWORD dst_unused:UNUSED_PAD src0_sel:WORD_1 src1_sel:DWORD
	v_and_b32_e32 v2, 0xffff, v2
	v_lshrrev_b32_e32 v21, v12, v18
	v_cndmask_b32_e64 v13, 0, 1, vcc_lo
	v_cmp_gt_i32_e32 vcc_lo, 31, v17
	v_fmac_f16_e32 v22, v36, v3
	v_mul_f16_sdwa v3, v36, v3 dst_sel:DWORD dst_unused:UNUSED_PAD src0_sel:WORD_1 src1_sel:DWORD
	v_lshlrev_b32_e32 v11, v12, v21
	v_lshl_or_b32 v13, v13, 9, 0x7c00
	v_cndmask_b32_e32 v4, 0x7c00, v4, vcc_lo
	v_cmp_eq_u32_e32 vcc_lo, 0x40f, v17
	v_and_or_b32 v6, 0x1ff, v7, v6
	v_lshrrev_b32_e32 v12, 16, v14
	v_add_nc_u32_e32 v17, 0xfffffc10, v20
	v_bfe_u32 v20, v7, 20, 11
	v_cndmask_b32_e32 v4, v4, v13, vcc_lo
	v_cmp_ne_u32_e32 vcc_lo, v11, v18
	v_cvt_f32_f16_e32 v13, v22
	v_lshl_or_b32 v18, v17, 12, v9
	v_fma_f16 v3, v36, v19, -v3
	v_and_or_b32 v4, 0x8000, v12, v4
	v_cndmask_b32_e64 v11, 0, 1, vcc_lo
	v_cmp_ne_u32_e32 vcc_lo, 0, v6
	v_cvt_f32_f16_e32 v3, v3
	v_lshl_or_b32 v0, v4, 16, v2
	v_or_b32_e32 v14, v21, v11
	v_cvt_f64_f32_e32 v[11:12], v13
	v_cndmask_b32_e64 v6, 0, 1, vcc_lo
	v_lshrrev_b32_e32 v13, 8, v7
	v_cmp_gt_i32_e32 vcc_lo, 1, v17
	v_and_or_b32 v6, 0xffe, v13, v6
	v_sub_nc_u32_e32 v13, 0x3f1, v20
	v_cndmask_b32_e32 v18, v18, v14, vcc_lo
	v_or_b32_e32 v4, 0x1000, v6
	v_med3_i32 v21, v13, 0, 13
	v_and_b32_e32 v2, 7, v18
	v_add_co_u32 v13, vcc_lo, v15, s3
	v_add_co_ci_u32_e32 v14, vcc_lo, s2, v16, vcc_lo
	v_lshrrev_b32_e32 v15, v21, v4
	v_cmp_lt_i32_e32 vcc_lo, 5, v2
	v_cmp_eq_u32_e64 s0, 3, v2
	v_lshrrev_b32_e32 v2, 2, v18
	v_mul_f64 v[11:12], v[11:12], s[4:5]
	v_lshlrev_b32_e32 v16, v21, v15
	global_store_dword v[13:14], v0, off
	s_or_b32 vcc_lo, s0, vcc_lo
	v_add_co_ci_u32_e32 v2, vcc_lo, 0, v2, vcc_lo
	v_cmp_ne_u32_e32 vcc_lo, v16, v4
	v_add_nc_u32_e32 v16, 0xfffffc10, v20
	v_cndmask_b32_e64 v4, 0, 1, vcc_lo
	v_cmp_ne_u32_e32 vcc_lo, 0, v9
	v_or_b32_e32 v4, v15, v4
	v_cndmask_b32_e64 v9, 0, 1, vcc_lo
	v_cmp_gt_i32_e32 vcc_lo, 31, v17
	v_lshl_or_b32 v15, v16, 12, v6
	v_and_or_b32 v11, 0x1ff, v12, v11
	v_lshl_or_b32 v9, v9, 9, 0x7c00
	v_cndmask_b32_e32 v18, 0x7c00, v2, vcc_lo
	v_cvt_f64_f32_e32 v[2:3], v3
	v_cmp_gt_i32_e32 vcc_lo, 1, v16
	v_cndmask_b32_e32 v4, v15, v4, vcc_lo
	v_cmp_eq_u32_e32 vcc_lo, 0x40f, v17
	v_lshrrev_b32_e32 v15, 8, v12
	v_bfe_u32 v17, v12, 20, 11
	v_lshrrev_b32_e32 v12, 16, v12
	v_cndmask_b32_e32 v0, v18, v9, vcc_lo
	v_cmp_ne_u32_e32 vcc_lo, 0, v11
	v_and_b32_e32 v9, 7, v4
	v_lshrrev_b32_e32 v18, 16, v1
	v_lshrrev_b32_e32 v4, 2, v4
	v_and_or_b32 v0, 0x8000, v10, v0
	v_cndmask_b32_e64 v11, 0, 1, vcc_lo
	v_cmp_lt_i32_e32 vcc_lo, 5, v9
	v_cmp_eq_u32_e64 s0, 3, v9
	v_sub_nc_u32_e32 v9, 0x3f1, v17
	v_mul_f64 v[2:3], v[2:3], s[4:5]
	v_and_or_b32 v11, 0xffe, v15, v11
	v_mul_f16_sdwa v15, v35, v18 dst_sel:DWORD dst_unused:UNUSED_PAD src0_sel:WORD_1 src1_sel:DWORD
	s_or_b32 vcc_lo, s0, vcc_lo
	v_med3_i32 v9, v9, 0, 13
	v_add_co_ci_u32_e32 v4, vcc_lo, 0, v4, vcc_lo
	v_or_b32_e32 v19, 0x1000, v11
	v_cmp_ne_u32_e32 vcc_lo, 0, v6
	v_fmac_f16_e32 v15, v35, v1
	v_and_b32_e32 v0, 0xffff, v0
	v_mul_f16_sdwa v1, v35, v1 dst_sel:DWORD dst_unused:UNUSED_PAD src0_sel:WORD_1 src1_sel:DWORD
	v_lshrrev_b32_e32 v20, v9, v19
	v_cndmask_b32_e64 v6, 0, 1, vcc_lo
	v_cmp_gt_i32_e32 vcc_lo, 31, v16
	v_cvt_f32_f16_e32 v15, v15
	s_mul_i32 s0, s9, 0xffffef98
	v_lshlrev_b32_e32 v21, v9, v20
	v_lshl_or_b32 v6, v6, 9, 0x7c00
	v_cndmask_b32_e32 v4, 0x7c00, v4, vcc_lo
	v_cmp_eq_u32_e32 vcc_lo, 0x40f, v16
	v_cvt_f64_f32_e32 v[9:10], v15
	v_and_or_b32 v2, 0x1ff, v3, v2
	v_add_nc_u32_e32 v15, 0xfffffc10, v17
	s_sub_i32 s1, s0, s8
	v_cndmask_b32_e32 v4, v4, v6, vcc_lo
	v_cmp_ne_u32_e32 vcc_lo, v21, v19
	v_lshrrev_b32_e32 v6, 16, v7
	v_lshrrev_b32_e32 v19, 8, v3
	v_lshl_or_b32 v17, v15, 12, v11
	v_cndmask_b32_e64 v7, 0, 1, vcc_lo
	v_cmp_ne_u32_e32 vcc_lo, 0, v2
	v_and_or_b32 v4, 0x8000, v6, v4
	v_or_b32_e32 v16, v20, v7
	v_cndmask_b32_e64 v2, 0, 1, vcc_lo
	v_bfe_u32 v20, v3, 20, 11
	v_cmp_gt_i32_e32 vcc_lo, 1, v15
	v_mad_u64_u32 v[6:7], null, 0xffffef98, s8, v[13:14]
	v_and_or_b32 v2, 0xffe, v19, v2
	v_sub_nc_u32_e32 v14, 0x3f1, v20
	v_cndmask_b32_e32 v13, v17, v16, vcc_lo
	v_mul_f64 v[9:10], v[9:10], s[4:5]
	v_lshl_or_b32 v19, v4, 16, v0
	v_or_b32_e32 v17, 0x1000, v2
	v_med3_i32 v14, v14, 0, 13
	v_and_b32_e32 v16, 7, v13
	v_fma_f16 v0, v35, v18, -v1
	v_lshrrev_b32_e32 v1, 2, v13
	v_add_nc_u32_e32 v7, s1, v7
	v_lshrrev_b32_e32 v4, v14, v17
	v_cmp_lt_i32_e32 vcc_lo, 5, v16
	v_cmp_eq_u32_e64 s0, 3, v16
	v_cvt_f32_f16_e32 v0, v0
	v_add_nc_u32_e32 v16, 0xfffffc10, v20
	v_lshlrev_b32_e32 v13, v14, v4
	s_or_b32 vcc_lo, s0, vcc_lo
	v_add_co_ci_u32_e32 v14, vcc_lo, 0, v1, vcc_lo
	v_cmp_ne_u32_e32 vcc_lo, v13, v17
	v_cvt_f64_f32_e32 v[0:1], v0
	v_and_or_b32 v9, 0x1ff, v10, v9
	v_lshrrev_b32_e32 v17, 8, v10
	v_cndmask_b32_e64 v13, 0, 1, vcc_lo
	v_cmp_gt_i32_e32 vcc_lo, 31, v15
	v_bfe_u32 v18, v10, 20, 11
	v_or_b32_e32 v4, v4, v13
	v_cndmask_b32_e32 v14, 0x7c00, v14, vcc_lo
	v_cmp_ne_u32_e32 vcc_lo, 0, v9
	v_lshl_or_b32 v13, v16, 12, v2
	v_cndmask_b32_e64 v9, 0, 1, vcc_lo
	v_cmp_ne_u32_e32 vcc_lo, 0, v11
	v_and_or_b32 v9, 0xffe, v17, v9
	v_cndmask_b32_e64 v11, 0, 1, vcc_lo
	v_cmp_gt_i32_e32 vcc_lo, 1, v16
	v_lshrrev_b32_e32 v17, 16, v5
	v_mul_f64 v[0:1], v[0:1], s[4:5]
	v_or_b32_e32 v21, 0x1000, v9
	v_lshl_or_b32 v11, v11, 9, 0x7c00
	v_cndmask_b32_e32 v4, v13, v4, vcc_lo
	v_sub_nc_u32_e32 v13, 0x3f1, v18
	v_cmp_eq_u32_e32 vcc_lo, 0x40f, v15
	v_mul_f16_sdwa v22, v34, v17 dst_sel:DWORD dst_unused:UNUSED_PAD src0_sel:WORD_1 src1_sel:DWORD
	v_add_nc_u32_e32 v18, 0xfffffc10, v18
	v_and_b32_e32 v20, 7, v4
	v_med3_i32 v13, v13, 0, 13
	v_cndmask_b32_e32 v11, v14, v11, vcc_lo
	v_lshrrev_b32_e32 v4, 2, v4
	v_fmac_f16_e32 v22, v34, v5
	v_cmp_lt_i32_e32 vcc_lo, 5, v20
	v_lshrrev_b32_e32 v14, v13, v21
	v_cmp_eq_u32_e64 s0, 3, v20
	v_and_or_b32 v15, 0x8000, v12, v11
	v_cvt_f32_f16_e32 v12, v22
	v_mul_f16_sdwa v5, v34, v5 dst_sel:DWORD dst_unused:UNUSED_PAD src0_sel:WORD_1 src1_sel:DWORD
	v_lshlrev_b32_e32 v11, v13, v14
	s_or_b32 vcc_lo, s0, vcc_lo
	v_add_co_ci_u32_e32 v4, vcc_lo, 0, v4, vcc_lo
	v_cmp_ne_u32_e32 vcc_lo, v11, v21
	v_cvt_f64_f32_e32 v[11:12], v12
	v_and_or_b32 v0, 0x1ff, v1, v0
	v_bfe_u32 v20, v1, 20, 11
	v_fma_f16 v5, v34, v17, -v5
	v_cndmask_b32_e64 v13, 0, 1, vcc_lo
	v_cmp_ne_u32_e32 vcc_lo, 0, v2
	v_lshrrev_b32_e32 v17, 16, v10
	v_or_b32_e32 v13, v14, v13
	v_cndmask_b32_e64 v2, 0, 1, vcc_lo
	v_cmp_gt_i32_e32 vcc_lo, 31, v16
	v_lshl_or_b32 v14, v18, 12, v9
	v_lshl_or_b32 v2, v2, 9, 0x7c00
	v_cndmask_b32_e32 v4, 0x7c00, v4, vcc_lo
	v_cmp_gt_i32_e32 vcc_lo, 1, v18
	v_cndmask_b32_e32 v13, v14, v13, vcc_lo
	v_cmp_ne_u32_e32 vcc_lo, 0, v0
	v_lshrrev_b32_e32 v14, 8, v1
	v_and_b32_e32 v21, 7, v13
	v_cndmask_b32_e64 v0, 0, 1, vcc_lo
	v_cmp_eq_u32_e32 vcc_lo, 0x40f, v16
	v_lshrrev_b32_e32 v16, 16, v3
	v_lshrrev_b32_e32 v13, 2, v13
	v_cmp_eq_u32_e64 s0, 3, v21
	v_and_or_b32 v0, 0xffe, v14, v0
	v_sub_nc_u32_e32 v14, 0x3f1, v20
	v_cndmask_b32_e32 v4, v4, v2, vcc_lo
	v_cmp_lt_i32_e32 vcc_lo, 5, v21
	v_mul_f64 v[2:3], v[11:12], s[4:5]
	v_or_b32_e32 v11, 0x1000, v0
	v_med3_i32 v12, v14, 0, 13
	v_and_or_b32 v4, 0x8000, v16, v4
	s_or_b32 vcc_lo, s0, vcc_lo
	v_and_b32_e32 v14, 0xffff, v15
	v_add_co_ci_u32_e32 v13, vcc_lo, 0, v13, vcc_lo
	v_lshrrev_b32_e32 v15, v12, v11
	v_cmp_ne_u32_e32 vcc_lo, 0, v9
	v_lshl_or_b32 v14, v4, 16, v14
	v_lshlrev_b32_e32 v4, v12, v15
	v_cndmask_b32_e64 v9, 0, 1, vcc_lo
	v_cmp_gt_i32_e32 vcc_lo, 31, v18
	v_lshl_or_b32 v9, v9, 9, 0x7c00
	v_cndmask_b32_e32 v12, 0x7c00, v13, vcc_lo
	v_cmp_ne_u32_e32 vcc_lo, v4, v11
	v_and_or_b32 v2, 0x1ff, v3, v2
	v_add_nc_u32_e32 v13, 0xfffffc10, v20
	v_bfe_u32 v16, v3, 20, 11
	v_cndmask_b32_e64 v4, 0, 1, vcc_lo
	v_cmp_eq_u32_e32 vcc_lo, 0x40f, v18
	v_cndmask_b32_e32 v11, v12, v9, vcc_lo
	v_cmp_ne_u32_e32 vcc_lo, 0, v2
	v_or_b32_e32 v9, v15, v4
	v_cvt_f32_f16_e32 v4, v5
	v_lshl_or_b32 v12, v13, 12, v0
	v_lshrrev_b32_e32 v15, 8, v3
	v_cndmask_b32_e64 v2, 0, 1, vcc_lo
	v_cmp_gt_i32_e32 vcc_lo, 1, v13
	v_cvt_f64_f32_e32 v[4:5], v4
	v_and_or_b32 v17, 0x8000, v17, v11
	v_lshrrev_b32_e32 v3, 16, v3
	v_and_or_b32 v2, 0xffe, v15, v2
	v_cndmask_b32_e32 v12, v12, v9, vcc_lo
	v_sub_nc_u32_e32 v9, 0x3f1, v16
	v_lshrrev_b32_e32 v15, 16, v8
	v_add_nc_u32_e32 v16, 0xfffffc10, v16
	v_or_b32_e32 v20, 0x1000, v2
	v_and_b32_e32 v18, 7, v12
	v_med3_i32 v21, v9, 0, 13
	v_mul_f16_sdwa v22, v33, v15 dst_sel:DWORD dst_unused:UNUSED_PAD src0_sel:WORD_1 src1_sel:DWORD
	v_add_co_u32 v9, vcc_lo, v6, s3
	v_add_co_ci_u32_e32 v10, vcc_lo, s2, v7, vcc_lo
	v_lshrrev_b32_e32 v23, v21, v20
	v_fmac_f16_e32 v22, v33, v8
	v_cmp_lt_i32_e32 vcc_lo, 5, v18
	v_cmp_eq_u32_e64 s0, 3, v18
	v_lshrrev_b32_e32 v11, 2, v12
	v_lshlrev_b32_e32 v18, v21, v23
	v_cvt_f32_f16_e32 v12, v22
	v_mul_f64 v[4:5], v[4:5], s[4:5]
	s_or_b32 vcc_lo, s0, vcc_lo
	v_mul_f16_sdwa v8, v33, v8 dst_sel:DWORD dst_unused:UNUSED_PAD src0_sel:WORD_1 src1_sel:DWORD
	v_add_co_ci_u32_e32 v21, vcc_lo, 0, v11, vcc_lo
	v_cmp_ne_u32_e32 vcc_lo, v18, v20
	v_cvt_f64_f32_e32 v[11:12], v12
	v_lshl_or_b32 v20, v16, 12, v2
	v_fma_f16 v8, v33, v15, -v8
	v_cndmask_b32_e64 v18, 0, 1, vcc_lo
	v_cmp_ne_u32_e32 vcc_lo, 0, v0
	v_cvt_f32_f16_e32 v8, v8
	v_or_b32_e32 v18, v23, v18
	v_cndmask_b32_e64 v0, 0, 1, vcc_lo
	v_cmp_gt_i32_e32 vcc_lo, 31, v13
	v_lshl_or_b32 v0, v0, 9, 0x7c00
	v_cndmask_b32_e32 v15, 0x7c00, v21, vcc_lo
	v_cmp_gt_i32_e32 vcc_lo, 1, v16
	v_and_or_b32 v4, 0x1ff, v5, v4
	v_bfe_u32 v21, v5, 20, 11
	v_cndmask_b32_e32 v18, v20, v18, vcc_lo
	v_cmp_eq_u32_e32 vcc_lo, 0x40f, v13
	v_mul_f64 v[11:12], v[11:12], s[4:5]
	v_lshrrev_b32_e32 v20, 8, v5
	v_lshrrev_b32_e32 v5, 16, v5
	v_cndmask_b32_e32 v13, v15, v0, vcc_lo
	v_lshrrev_b32_e32 v15, 16, v1
	v_cvt_f64_f32_e32 v[0:1], v8
	v_cmp_ne_u32_e32 vcc_lo, 0, v4
	v_and_b32_e32 v8, 7, v18
	v_and_or_b32 v13, 0x8000, v15, v13
	v_and_b32_e32 v15, 0xffff, v17
	v_cndmask_b32_e64 v4, 0, 1, vcc_lo
	v_cmp_lt_i32_e32 vcc_lo, 5, v8
	v_cmp_eq_u32_e64 s0, 3, v8
	v_sub_nc_u32_e32 v17, 0x3f1, v21
	v_lshl_or_b32 v8, v13, 16, v15
	v_lshrrev_b32_e32 v13, 2, v18
	v_and_or_b32 v4, 0xffe, v20, v4
	s_or_b32 vcc_lo, s0, vcc_lo
	v_med3_i32 v17, v17, 0, 13
	v_add_co_ci_u32_e32 v13, vcc_lo, 0, v13, vcc_lo
	v_or_b32_e32 v15, 0x1000, v4
	v_cmp_ne_u32_e32 vcc_lo, 0, v2
	v_and_or_b32 v11, 0x1ff, v12, v11
	v_lshrrev_b32_e32 v20, 8, v12
	v_mul_f64 v[0:1], v[0:1], s[4:5]
	v_lshrrev_b32_e32 v18, v17, v15
	v_cndmask_b32_e64 v2, 0, 1, vcc_lo
	v_cmp_gt_i32_e32 vcc_lo, 31, v16
	v_bfe_u32 v22, v12, 20, 11
	v_lshrrev_b32_e32 v12, 16, v12
	v_lshlrev_b32_e32 v17, v17, v18
	v_lshl_or_b32 v2, v2, 9, 0x7c00
	v_cndmask_b32_e32 v13, 0x7c00, v13, vcc_lo
	v_cmp_ne_u32_e32 vcc_lo, 0, v11
	v_cndmask_b32_e64 v11, 0, 1, vcc_lo
	v_cmp_ne_u32_e32 vcc_lo, v17, v15
	v_add_nc_u32_e32 v17, 0xfffffc10, v21
	v_and_or_b32 v11, 0xffe, v20, v11
	v_cndmask_b32_e64 v15, 0, 1, vcc_lo
	v_sub_nc_u32_e32 v20, 0x3f1, v22
	v_cmp_eq_u32_e32 vcc_lo, 0x40f, v16
	v_and_or_b32 v0, 0x1ff, v1, v0
	v_or_b32_e32 v16, 0x1000, v11
	v_bfe_u32 v21, v1, 20, 11
	v_cndmask_b32_e32 v2, v13, v2, vcc_lo
	v_or_b32_e32 v13, v18, v15
	v_lshl_or_b32 v15, v17, 12, v4
	v_med3_i32 v18, v20, 0, 13
	v_cmp_gt_i32_e32 vcc_lo, 1, v17
	v_lshrrev_b32_e32 v20, 8, v1
	v_and_or_b32 v2, 0x8000, v3, v2
	v_sub_nc_u32_e32 v3, 0x3f1, v21
	v_cndmask_b32_e32 v13, v15, v13, vcc_lo
	v_lshrrev_b32_e32 v15, v18, v16
	v_cmp_ne_u32_e32 vcc_lo, 0, v0
	v_med3_i32 v3, v3, 0, 13
	v_and_b32_e32 v2, 0xffff, v2
	v_and_b32_e32 v23, 7, v13
	v_lshlrev_b32_e32 v18, v18, v15
	v_cndmask_b32_e64 v0, 0, 1, vcc_lo
	v_lshrrev_b32_e32 v13, 2, v13
	v_cmp_lt_i32_e32 vcc_lo, 5, v23
	v_cmp_ne_u32_e64 s0, v18, v16
	v_and_or_b32 v0, 0xffe, v20, v0
	v_add_nc_u32_e32 v20, 0xfffffc10, v22
	v_cndmask_b32_e64 v16, 0, 1, s0
	v_cmp_eq_u32_e64 s0, 3, v23
	v_or_b32_e32 v18, 0x1000, v0
	v_lshl_or_b32 v22, v20, 12, v11
	v_or_b32_e32 v15, v15, v16
	s_or_b32 vcc_lo, s0, vcc_lo
	v_lshrrev_b32_e32 v16, v3, v18
	v_add_co_ci_u32_e32 v13, vcc_lo, 0, v13, vcc_lo
	v_cmp_gt_i32_e32 vcc_lo, 1, v20
	v_lshlrev_b32_e32 v3, v3, v16
	v_cndmask_b32_e32 v15, v22, v15, vcc_lo
	v_cmp_ne_u32_e32 vcc_lo, 0, v4
	v_cndmask_b32_e64 v4, 0, 1, vcc_lo
	v_cmp_ne_u32_e32 vcc_lo, v3, v18
	v_add_nc_u32_e32 v18, 0xfffffc10, v21
	v_and_b32_e32 v21, 7, v15
	v_lshl_or_b32 v4, v4, 9, 0x7c00
	v_cndmask_b32_e64 v3, 0, 1, vcc_lo
	v_cmp_gt_i32_e32 vcc_lo, 31, v17
	v_cmp_gt_i32_e64 s1, 1, v18
	v_cmp_eq_u32_e64 s0, 3, v21
	v_or_b32_e32 v3, v16, v3
	v_lshl_or_b32 v16, v18, 12, v0
	v_cndmask_b32_e32 v13, 0x7c00, v13, vcc_lo
	v_cmp_lt_i32_e32 vcc_lo, 5, v21
	v_cndmask_b32_e64 v3, v16, v3, s1
	v_cmp_eq_u32_e64 s1, 0x40f, v17
	s_or_b32 vcc_lo, s0, vcc_lo
	v_cndmask_b32_e64 v4, v13, v4, s1
	v_lshrrev_b32_e32 v13, 2, v15
	v_and_b32_e32 v15, 7, v3
	v_lshrrev_b32_e32 v3, 2, v3
	v_cmp_gt_i32_e64 s1, 31, v20
	v_and_or_b32 v4, 0x8000, v5, v4
	v_add_co_ci_u32_e32 v13, vcc_lo, 0, v13, vcc_lo
	v_cmp_ne_u32_e32 vcc_lo, 0, v11
	v_cmp_eq_u32_e64 s0, 3, v15
	v_cndmask_b32_e64 v13, 0x7c00, v13, s1
	v_cndmask_b32_e64 v11, 0, 1, vcc_lo
	v_cmp_lt_i32_e32 vcc_lo, 5, v15
	v_lshl_or_b32 v11, v11, 9, 0x7c00
	s_or_b32 vcc_lo, s0, vcc_lo
	v_add_co_ci_u32_e32 v3, vcc_lo, 0, v3, vcc_lo
	v_cmp_ne_u32_e32 vcc_lo, 0, v0
	v_cndmask_b32_e64 v0, 0, 1, vcc_lo
	v_cmp_eq_u32_e32 vcc_lo, 0x40f, v20
	v_lshl_or_b32 v0, v0, 9, 0x7c00
	v_cndmask_b32_e32 v11, v13, v11, vcc_lo
	v_cmp_gt_i32_e32 vcc_lo, 31, v18
	v_and_or_b32 v5, 0x8000, v12, v11
	v_cndmask_b32_e32 v3, 0x7c00, v3, vcc_lo
	v_cmp_eq_u32_e32 vcc_lo, 0x40f, v18
	v_lshrrev_b32_e32 v11, 16, v1
	v_lshl_or_b32 v12, v4, 16, v2
	v_and_b32_e32 v5, 0xffff, v5
	v_cndmask_b32_e32 v3, v3, v0, vcc_lo
	v_add_co_u32 v0, vcc_lo, v9, s3
	v_add_co_ci_u32_e32 v1, vcc_lo, s2, v10, vcc_lo
	v_and_or_b32 v4, 0x8000, v11, v3
	v_add_co_u32 v2, vcc_lo, v0, s3
	v_add_co_ci_u32_e32 v3, vcc_lo, s2, v1, vcc_lo
	v_lshl_or_b32 v11, v4, 16, v5
	v_add_co_u32 v4, vcc_lo, v2, s3
	v_add_co_ci_u32_e32 v5, vcc_lo, s2, v3, vcc_lo
	global_store_dword v[6:7], v19, off
	global_store_dword v[9:10], v14, off
	;; [unrolled: 1-line block ×5, first 2 shown]
.LBB0_10:
	s_endpgm
	.section	.rodata,"a",@progbits
	.p2align	6, 0x0
	.amdhsa_kernel bluestein_single_fwd_len1500_dim1_half_op_CI_CI
		.amdhsa_group_segment_fixed_size 6000
		.amdhsa_private_segment_fixed_size 0
		.amdhsa_kernarg_size 104
		.amdhsa_user_sgpr_count 6
		.amdhsa_user_sgpr_private_segment_buffer 1
		.amdhsa_user_sgpr_dispatch_ptr 0
		.amdhsa_user_sgpr_queue_ptr 0
		.amdhsa_user_sgpr_kernarg_segment_ptr 1
		.amdhsa_user_sgpr_dispatch_id 0
		.amdhsa_user_sgpr_flat_scratch_init 0
		.amdhsa_user_sgpr_private_segment_size 0
		.amdhsa_wavefront_size32 1
		.amdhsa_uses_dynamic_stack 0
		.amdhsa_system_sgpr_private_segment_wavefront_offset 0
		.amdhsa_system_sgpr_workgroup_id_x 1
		.amdhsa_system_sgpr_workgroup_id_y 0
		.amdhsa_system_sgpr_workgroup_id_z 0
		.amdhsa_system_sgpr_workgroup_info 0
		.amdhsa_system_vgpr_workitem_id 0
		.amdhsa_next_free_vgpr 90
		.amdhsa_next_free_sgpr 20
		.amdhsa_reserve_vcc 1
		.amdhsa_reserve_flat_scratch 0
		.amdhsa_float_round_mode_32 0
		.amdhsa_float_round_mode_16_64 0
		.amdhsa_float_denorm_mode_32 3
		.amdhsa_float_denorm_mode_16_64 3
		.amdhsa_dx10_clamp 1
		.amdhsa_ieee_mode 1
		.amdhsa_fp16_overflow 0
		.amdhsa_workgroup_processor_mode 1
		.amdhsa_memory_ordered 1
		.amdhsa_forward_progress 0
		.amdhsa_shared_vgpr_count 0
		.amdhsa_exception_fp_ieee_invalid_op 0
		.amdhsa_exception_fp_denorm_src 0
		.amdhsa_exception_fp_ieee_div_zero 0
		.amdhsa_exception_fp_ieee_overflow 0
		.amdhsa_exception_fp_ieee_underflow 0
		.amdhsa_exception_fp_ieee_inexact 0
		.amdhsa_exception_int_div_zero 0
	.end_amdhsa_kernel
	.text
.Lfunc_end0:
	.size	bluestein_single_fwd_len1500_dim1_half_op_CI_CI, .Lfunc_end0-bluestein_single_fwd_len1500_dim1_half_op_CI_CI
                                        ; -- End function
	.section	.AMDGPU.csdata,"",@progbits
; Kernel info:
; codeLenInByte = 16696
; NumSgprs: 22
; NumVgprs: 90
; ScratchSize: 0
; MemoryBound: 0
; FloatMode: 240
; IeeeMode: 1
; LDSByteSize: 6000 bytes/workgroup (compile time only)
; SGPRBlocks: 2
; VGPRBlocks: 11
; NumSGPRsForWavesPerEU: 22
; NumVGPRsForWavesPerEU: 90
; Occupancy: 10
; WaveLimiterHint : 1
; COMPUTE_PGM_RSRC2:SCRATCH_EN: 0
; COMPUTE_PGM_RSRC2:USER_SGPR: 6
; COMPUTE_PGM_RSRC2:TRAP_HANDLER: 0
; COMPUTE_PGM_RSRC2:TGID_X_EN: 1
; COMPUTE_PGM_RSRC2:TGID_Y_EN: 0
; COMPUTE_PGM_RSRC2:TGID_Z_EN: 0
; COMPUTE_PGM_RSRC2:TIDIG_COMP_CNT: 0
	.text
	.p2alignl 6, 3214868480
	.fill 48, 4, 3214868480
	.type	__hip_cuid_2e6a2c18fc754320,@object ; @__hip_cuid_2e6a2c18fc754320
	.section	.bss,"aw",@nobits
	.globl	__hip_cuid_2e6a2c18fc754320
__hip_cuid_2e6a2c18fc754320:
	.byte	0                               ; 0x0
	.size	__hip_cuid_2e6a2c18fc754320, 1

	.ident	"AMD clang version 19.0.0git (https://github.com/RadeonOpenCompute/llvm-project roc-6.4.0 25133 c7fe45cf4b819c5991fe208aaa96edf142730f1d)"
	.section	".note.GNU-stack","",@progbits
	.addrsig
	.addrsig_sym __hip_cuid_2e6a2c18fc754320
	.amdgpu_metadata
---
amdhsa.kernels:
  - .args:
      - .actual_access:  read_only
        .address_space:  global
        .offset:         0
        .size:           8
        .value_kind:     global_buffer
      - .actual_access:  read_only
        .address_space:  global
        .offset:         8
        .size:           8
        .value_kind:     global_buffer
      - .actual_access:  read_only
        .address_space:  global
        .offset:         16
        .size:           8
        .value_kind:     global_buffer
      - .actual_access:  read_only
        .address_space:  global
        .offset:         24
        .size:           8
        .value_kind:     global_buffer
      - .actual_access:  read_only
        .address_space:  global
        .offset:         32
        .size:           8
        .value_kind:     global_buffer
      - .offset:         40
        .size:           8
        .value_kind:     by_value
      - .address_space:  global
        .offset:         48
        .size:           8
        .value_kind:     global_buffer
      - .address_space:  global
        .offset:         56
        .size:           8
        .value_kind:     global_buffer
      - .address_space:  global
        .offset:         64
        .size:           8
        .value_kind:     global_buffer
      - .address_space:  global
        .offset:         72
        .size:           8
        .value_kind:     global_buffer
      - .offset:         80
        .size:           4
        .value_kind:     by_value
      - .address_space:  global
        .offset:         88
        .size:           8
        .value_kind:     global_buffer
      - .address_space:  global
        .offset:         96
        .size:           8
        .value_kind:     global_buffer
    .group_segment_fixed_size: 6000
    .kernarg_segment_align: 8
    .kernarg_segment_size: 104
    .language:       OpenCL C
    .language_version:
      - 2
      - 0
    .max_flat_workgroup_size: 150
    .name:           bluestein_single_fwd_len1500_dim1_half_op_CI_CI
    .private_segment_fixed_size: 0
    .sgpr_count:     22
    .sgpr_spill_count: 0
    .symbol:         bluestein_single_fwd_len1500_dim1_half_op_CI_CI.kd
    .uniform_work_group_size: 1
    .uses_dynamic_stack: false
    .vgpr_count:     90
    .vgpr_spill_count: 0
    .wavefront_size: 32
    .workgroup_processor_mode: 1
amdhsa.target:   amdgcn-amd-amdhsa--gfx1030
amdhsa.version:
  - 1
  - 2
...

	.end_amdgpu_metadata
